;; amdgpu-corpus repo=ROCm/rocFFT kind=compiled arch=gfx906 opt=O3
	.text
	.amdgcn_target "amdgcn-amd-amdhsa--gfx906"
	.amdhsa_code_object_version 6
	.protected	bluestein_single_back_len1331_dim1_sp_op_CI_CI ; -- Begin function bluestein_single_back_len1331_dim1_sp_op_CI_CI
	.globl	bluestein_single_back_len1331_dim1_sp_op_CI_CI
	.p2align	8
	.type	bluestein_single_back_len1331_dim1_sp_op_CI_CI,@function
bluestein_single_back_len1331_dim1_sp_op_CI_CI: ; @bluestein_single_back_len1331_dim1_sp_op_CI_CI
; %bb.0:
	s_load_dwordx4 s[12:15], s[4:5], 0x28
	v_mul_u32_u24_e32 v1, 0x21e, v0
	v_lshrrev_b32_e32 v1, 16, v1
	v_lshl_add_u32 v58, s6, 1, v1
	v_mov_b32_e32 v59, 0
	s_waitcnt lgkmcnt(0)
	v_cmp_gt_u64_e32 vcc, s[12:13], v[58:59]
	s_and_saveexec_b64 s[0:1], vcc
	s_cbranch_execz .LBB0_2
; %bb.1:
	s_load_dwordx4 s[0:3], s[4:5], 0x18
	s_load_dwordx4 s[8:11], s[4:5], 0x0
	v_mul_lo_u16_e32 v2, 0x79, v1
	v_sub_u16_e32 v76, v0, v2
	v_lshlrev_b32_e32 v27, 3, v76
	s_waitcnt lgkmcnt(0)
	s_load_dwordx4 s[16:19], s[0:1], 0x0
	s_movk_i32 s6, 0x1000
	s_mov_b32 s7, 0x3ed4b147
	s_mov_b32 s12, 0xbf75a155
	s_movk_i32 s13, 0x75
	s_waitcnt lgkmcnt(0)
	v_mad_u64_u32 v[2:3], s[0:1], s18, v58, 0
	v_mad_u64_u32 v[4:5], s[0:1], s16, v76, 0
	v_mov_b32_e32 v0, v3
	v_mov_b32_e32 v3, v5
	v_mad_u64_u32 v[5:6], s[0:1], s19, v58, v[0:1]
	v_mad_u64_u32 v[6:7], s[0:1], s17, v76, v[3:4]
	v_mov_b32_e32 v3, v5
	v_lshlrev_b64 v[2:3], 3, v[2:3]
	v_mov_b32_e32 v0, s15
	v_mov_b32_e32 v5, v6
	v_add_co_u32_e32 v6, vcc, s14, v2
	v_addc_co_u32_e32 v0, vcc, v0, v3, vcc
	v_lshlrev_b64 v[2:3], 3, v[4:5]
	s_mul_i32 s0, s17, 0x3c8
	v_add_co_u32_e32 v2, vcc, v6, v2
	v_addc_co_u32_e32 v3, vcc, v0, v3, vcc
	v_mov_b32_e32 v0, s9
	v_add_co_u32_e32 v46, vcc, s8, v27
	s_mul_hi_u32 s1, s16, 0x3c8
	v_addc_co_u32_e32 v47, vcc, 0, v0, vcc
	s_add_i32 s0, s1, s0
	s_mul_i32 s1, s16, 0x3c8
	global_load_dwordx2 v[4:5], v[2:3], off
	v_mov_b32_e32 v0, s0
	v_add_co_u32_e32 v2, vcc, s1, v2
	v_addc_co_u32_e32 v3, vcc, v3, v0, vcc
	v_add_co_u32_e32 v6, vcc, s1, v2
	v_addc_co_u32_e32 v7, vcc, v3, v0, vcc
	;; [unrolled: 2-line block ×4, first 2 shown]
	global_load_dwordx2 v[69:70], v27, s[8:9]
	global_load_dwordx2 v[67:68], v27, s[8:9] offset:968
	global_load_dwordx2 v[65:66], v27, s[8:9] offset:1936
	;; [unrolled: 1-line block ×3, first 2 shown]
	global_load_dwordx2 v[12:13], v[2:3], off
	global_load_dwordx2 v[14:15], v[6:7], off
	;; [unrolled: 1-line block ×4, first 2 shown]
	global_load_dwordx2 v[59:60], v27, s[8:9] offset:3872
	v_add_co_u32_e32 v2, vcc, s1, v10
	v_addc_co_u32_e32 v3, vcc, v11, v0, vcc
	v_add_co_u32_e32 v8, vcc, s6, v46
	v_addc_co_u32_e32 v9, vcc, 0, v47, vcc
	global_load_dwordx2 v[6:7], v[2:3], off
	v_add_co_u32_e32 v2, vcc, s1, v2
	v_addc_co_u32_e32 v3, vcc, v3, v0, vcc
	global_load_dwordx2 v[10:11], v[2:3], off
	;; [unrolled: 3-line block ×3, first 2 shown]
	v_add_co_u32_e32 v2, vcc, s1, v2
	v_addc_co_u32_e32 v3, vcc, v3, v0, vcc
	global_load_dwordx2 v[56:57], v[8:9], off offset:744
	global_load_dwordx2 v[23:24], v[2:3], off
	global_load_dwordx2 v[63:64], v[8:9], off offset:1712
	global_load_dwordx2 v[54:55], v[8:9], off offset:2680
	;; [unrolled: 1-line block ×3, first 2 shown]
	v_add_co_u32_e32 v2, vcc, s1, v2
	v_addc_co_u32_e32 v3, vcc, v3, v0, vcc
	s_movk_i32 s6, 0x2000
	v_add_co_u32_e32 v40, vcc, s6, v46
	v_addc_co_u32_e32 v41, vcc, 0, v47, vcc
	global_load_dwordx2 v[8:9], v[2:3], off
	global_load_dwordx2 v[50:51], v[40:41], off offset:520
	v_add_co_u32_e32 v2, vcc, s1, v2
	v_addc_co_u32_e32 v3, vcc, v3, v0, vcc
	global_load_dwordx2 v[25:26], v[2:3], off
	global_load_dwordx2 v[48:49], v[40:41], off offset:1488
	v_and_b32_e32 v0, 1, v1
	v_mov_b32_e32 v1, 0x2998
	v_cmp_eq_u32_e32 vcc, 1, v0
	v_cndmask_b32_e32 v22, 0, v1, vcc
	v_add_u32_e32 v75, v22, v27
	v_add_u32_e32 v80, 0x400, v75
	v_add_u32_e32 v79, 0xc00, v75
	v_add_u32_e32 v78, 0x1400, v75
	v_add_u32_e32 v77, 0x1c00, v75
	s_load_dwordx4 s[0:3], s[2:3], 0x0
	s_mov_b32 s8, 0x3f575c64
	s_mov_b32 s6, 0xbe11bafb
	;; [unrolled: 1-line block ×3, first 2 shown]
	s_waitcnt vmcnt(20)
	v_mul_f32_e32 v0, v5, v70
	v_mul_f32_e32 v1, v4, v70
	s_waitcnt vmcnt(16)
	v_mul_f32_e32 v2, v13, v68
	v_mul_f32_e32 v3, v12, v68
	v_fmac_f32_e32 v0, v4, v69
	v_fma_f32 v1, v5, v69, -v1
	v_fmac_f32_e32 v2, v12, v67
	v_fma_f32 v3, v13, v67, -v3
	ds_write2_b64 v75, v[0:1], v[2:3] offset1:121
	s_waitcnt vmcnt(15)
	v_mul_f32_e32 v0, v15, v66
	v_mul_f32_e32 v1, v14, v66
	s_waitcnt vmcnt(14)
	v_mul_f32_e32 v2, v17, v62
	v_mul_f32_e32 v3, v16, v62
	v_fmac_f32_e32 v0, v14, v65
	v_fma_f32 v1, v15, v65, -v1
	v_fmac_f32_e32 v2, v16, v61
	v_fma_f32 v3, v17, v61, -v3
	ds_write2_b64 v80, v[0:1], v[2:3] offset0:114 offset1:235
	s_waitcnt vmcnt(12)
	v_mul_f32_e32 v0, v19, v60
	v_mul_f32_e32 v1, v18, v60
	v_fmac_f32_e32 v0, v18, v59
	v_fma_f32 v1, v19, v59, -v1
	s_waitcnt vmcnt(8)
	v_mul_f32_e32 v2, v7, v57
	v_mul_f32_e32 v3, v6, v57
	v_fmac_f32_e32 v2, v6, v56
	v_fma_f32 v3, v7, v56, -v3
	ds_write2_b64 v79, v[0:1], v[2:3] offset0:100 offset1:221
	s_waitcnt vmcnt(6)
	v_mul_f32_e32 v0, v11, v64
	v_mul_f32_e32 v1, v10, v64
	s_waitcnt vmcnt(5)
	v_mul_f32_e32 v2, v21, v55
	v_mul_f32_e32 v3, v20, v55
	v_fmac_f32_e32 v0, v10, v63
	v_fma_f32 v1, v11, v63, -v1
	v_fmac_f32_e32 v2, v20, v54
	v_fma_f32 v3, v21, v54, -v3
	ds_write2_b64 v78, v[0:1], v[2:3] offset0:86 offset1:207
	s_waitcnt vmcnt(4)
	v_mul_f32_e32 v0, v24, v53
	v_mul_f32_e32 v1, v23, v53
	s_waitcnt vmcnt(2)
	v_mul_f32_e32 v2, v9, v51
	v_mul_f32_e32 v3, v8, v51
	v_fmac_f32_e32 v0, v23, v52
	v_fma_f32 v1, v24, v52, -v1
	v_fmac_f32_e32 v2, v8, v50
	v_fma_f32 v3, v9, v50, -v3
	ds_write2_b64 v77, v[0:1], v[2:3] offset0:72 offset1:193
	s_waitcnt vmcnt(0)
	v_mul_f32_e32 v0, v26, v49
	v_mul_f32_e32 v1, v25, v49
	v_fmac_f32_e32 v0, v25, v48
	v_fma_f32 v1, v26, v48, -v1
	ds_write_b64 v75, v[0:1] offset:9680
	s_waitcnt lgkmcnt(0)
	s_barrier
	ds_read2_b64 v[2:5], v75 offset1:121
	ds_read2_b64 v[6:9], v80 offset0:114 offset1:235
	ds_read2_b64 v[10:13], v79 offset0:100 offset1:221
	;; [unrolled: 1-line block ×4, first 2 shown]
	ds_read_b64 v[23:24], v75 offset:9680
	s_waitcnt lgkmcnt(5)
	v_add_f32_e32 v0, v2, v4
	v_add_f32_e32 v1, v3, v5
	s_waitcnt lgkmcnt(4)
	v_add_f32_e32 v0, v0, v6
	v_add_f32_e32 v1, v1, v7
	v_add_f32_e32 v0, v0, v8
	v_add_f32_e32 v1, v1, v9
	s_waitcnt lgkmcnt(3)
	v_add_f32_e32 v0, v0, v10
	v_add_f32_e32 v1, v1, v11
	;; [unrolled: 5-line block ×4, first 2 shown]
	v_add_f32_e32 v0, v0, v20
	s_waitcnt lgkmcnt(0)
	v_add_f32_e32 v25, v23, v4
	v_add_f32_e32 v26, v24, v5
	v_sub_f32_e32 v4, v4, v23
	v_sub_f32_e32 v5, v5, v24
	v_add_f32_e32 v1, v1, v21
	v_add_f32_e32 v0, v0, v23
	v_mul_f32_e32 v23, 0xbf0a6770, v5
	v_mul_f32_e32 v27, 0xbf0a6770, v4
	;; [unrolled: 1-line block ×10, first 2 shown]
	v_add_f32_e32 v1, v1, v24
	v_fma_f32 v24, v25, s8, -v23
	v_fmac_f32_e32 v23, 0x3f575c64, v25
	v_fma_f32 v30, v25, s7, -v29
	v_fmac_f32_e32 v29, 0x3ed4b147, v25
	;; [unrolled: 2-line block ×4, first 2 shown]
	v_fma_f32 v43, v25, s12, -v5
	v_mov_b32_e32 v44, v4
	v_fmac_f32_e32 v5, 0xbf75a155, v25
	v_add_f32_e32 v24, v2, v24
	v_fma_f32 v28, v26, s8, -v27
	v_fmac_f32_e32 v27, 0x3f575c64, v26
	v_add_f32_e32 v23, v2, v23
	v_add_f32_e32 v30, v2, v30
	v_fma_f32 v32, v26, s7, -v31
	v_fmac_f32_e32 v31, 0x3ed4b147, v26
	v_add_f32_e32 v29, v2, v29
	;; [unrolled: 4-line block ×4, first 2 shown]
	v_add_f32_e32 v43, v2, v43
	v_fmac_f32_e32 v44, 0xbf75a155, v26
	v_add_f32_e32 v2, v2, v5
	v_fma_f32 v4, v26, s12, -v4
	v_add_f32_e32 v5, v21, v7
	v_sub_f32_e32 v7, v7, v21
	v_add_f32_e32 v27, v3, v27
	v_add_f32_e32 v28, v3, v28
	;; [unrolled: 1-line block ×11, first 2 shown]
	v_sub_f32_e32 v6, v6, v20
	v_mul_f32_e32 v20, 0xbf68dda4, v7
	v_fma_f32 v21, v4, s7, -v20
	v_add_f32_e32 v21, v21, v24
	v_mul_f32_e32 v24, 0xbf68dda4, v6
	v_fma_f32 v25, v5, s7, -v24
	v_fmac_f32_e32 v20, 0x3ed4b147, v4
	v_add_f32_e32 v20, v20, v23
	v_add_f32_e32 v23, v25, v28
	v_mul_f32_e32 v25, 0xbf4178ce, v7
	v_fmac_f32_e32 v24, 0x3ed4b147, v5
	v_fma_f32 v26, v4, s9, -v25
	v_fmac_f32_e32 v25, 0xbf27a4f4, v4
	v_add_f32_e32 v24, v24, v27
	v_mul_f32_e32 v27, 0xbf4178ce, v6
	v_add_f32_e32 v25, v25, v29
	v_mul_f32_e32 v29, 0x3e903f40, v7
	v_add_f32_e32 v26, v26, v30
	v_fma_f32 v28, v5, s9, -v27
	v_fmac_f32_e32 v27, 0xbf27a4f4, v5
	v_fma_f32 v30, v4, s12, -v29
	v_fmac_f32_e32 v29, 0xbf75a155, v4
	v_add_f32_e32 v27, v27, v31
	v_mul_f32_e32 v31, 0x3e903f40, v6
	v_add_f32_e32 v29, v29, v33
	v_mul_f32_e32 v33, 0x3f7d64f0, v7
	v_add_f32_e32 v28, v28, v32
	v_add_f32_e32 v30, v30, v34
	v_fma_f32 v32, v5, s12, -v31
	v_fmac_f32_e32 v31, 0xbf75a155, v5
	v_fma_f32 v34, v4, s6, -v33
	v_fmac_f32_e32 v33, 0xbe11bafb, v4
	v_mul_f32_e32 v7, 0x3f0a6770, v7
	v_add_f32_e32 v31, v31, v35
	v_mul_f32_e32 v35, 0x3f7d64f0, v6
	v_add_f32_e32 v33, v33, v37
	v_fma_f32 v37, v4, s8, -v7
	v_mul_f32_e32 v6, 0x3f0a6770, v6
	v_fmac_f32_e32 v7, 0x3f575c64, v4
	v_add_f32_e32 v2, v7, v2
	v_fma_f32 v4, v5, s8, -v6
	v_sub_f32_e32 v7, v9, v19
	v_add_f32_e32 v34, v34, v38
	v_mov_b32_e32 v38, v6
	v_add_f32_e32 v3, v4, v3
	v_add_f32_e32 v4, v18, v8
	v_sub_f32_e32 v6, v8, v18
	v_mul_f32_e32 v8, 0xbf7d64f0, v7
	v_add_f32_e32 v32, v32, v36
	v_fma_f32 v36, v5, s6, -v35
	v_fmac_f32_e32 v35, 0xbe11bafb, v5
	v_fmac_f32_e32 v38, 0x3f575c64, v5
	v_add_f32_e32 v5, v19, v9
	v_fma_f32 v9, v4, s6, -v8
	v_fmac_f32_e32 v8, 0xbe11bafb, v4
	v_mul_f32_e32 v18, 0xbf7d64f0, v6
	v_add_f32_e32 v8, v8, v20
	v_mul_f32_e32 v20, 0x3e903f40, v7
	v_add_f32_e32 v9, v9, v21
	v_fma_f32 v19, v5, s6, -v18
	v_fma_f32 v21, v4, s12, -v20
	v_fmac_f32_e32 v20, 0xbf75a155, v4
	v_fmac_f32_e32 v18, 0xbe11bafb, v5
	v_add_f32_e32 v19, v19, v23
	v_mul_f32_e32 v23, 0x3e903f40, v6
	v_add_f32_e32 v20, v20, v25
	v_mul_f32_e32 v25, 0x3f68dda4, v7
	v_add_f32_e32 v18, v18, v24
	v_add_f32_e32 v21, v21, v26
	v_fma_f32 v24, v5, s12, -v23
	v_fmac_f32_e32 v23, 0xbf75a155, v5
	v_fma_f32 v26, v4, s7, -v25
	v_fmac_f32_e32 v25, 0x3ed4b147, v4
	v_add_f32_e32 v23, v23, v27
	v_mul_f32_e32 v27, 0x3f68dda4, v6
	v_add_f32_e32 v25, v25, v29
	v_mul_f32_e32 v29, 0xbf0a6770, v7
	v_add_f32_e32 v24, v24, v28
	v_add_f32_e32 v26, v26, v30
	v_fma_f32 v28, v5, s7, -v27
	v_fmac_f32_e32 v27, 0x3ed4b147, v5
	v_fma_f32 v30, v4, s8, -v29
	v_fmac_f32_e32 v29, 0x3f575c64, v4
	v_mul_f32_e32 v7, 0xbf4178ce, v7
	v_add_f32_e32 v27, v27, v31
	v_mul_f32_e32 v31, 0xbf0a6770, v6
	v_add_f32_e32 v29, v29, v33
	v_fma_f32 v33, v4, s9, -v7
	v_mul_f32_e32 v6, 0xbf4178ce, v6
	v_fmac_f32_e32 v7, 0xbf27a4f4, v4
	v_add_f32_e32 v2, v7, v2
	v_fma_f32 v4, v5, s9, -v6
	v_sub_f32_e32 v7, v11, v17
	v_add_f32_e32 v30, v30, v34
	v_mov_b32_e32 v34, v6
	v_add_f32_e32 v3, v4, v3
	v_add_f32_e32 v4, v16, v10
	v_sub_f32_e32 v6, v10, v16
	v_mul_f32_e32 v10, 0xbf4178ce, v7
	v_add_f32_e32 v28, v28, v32
	v_fma_f32 v32, v5, s8, -v31
	v_fmac_f32_e32 v31, 0x3f575c64, v5
	v_fmac_f32_e32 v34, 0xbf27a4f4, v5
	v_add_f32_e32 v5, v17, v11
	v_fma_f32 v11, v4, s9, -v10
	v_add_f32_e32 v9, v11, v9
	v_mul_f32_e32 v11, 0xbf4178ce, v6
	v_fma_f32 v16, v5, s9, -v11
	v_fmac_f32_e32 v10, 0xbf27a4f4, v4
	v_fmac_f32_e32 v11, 0xbf27a4f4, v5
	v_add_f32_e32 v8, v10, v8
	v_add_f32_e32 v10, v16, v19
	v_mul_f32_e32 v16, 0x3f7d64f0, v7
	v_add_f32_e32 v11, v11, v18
	v_fma_f32 v17, v4, s6, -v16
	v_mul_f32_e32 v18, 0x3f7d64f0, v6
	v_fmac_f32_e32 v16, 0xbe11bafb, v4
	v_fma_f32 v19, v5, s6, -v18
	v_fmac_f32_e32 v18, 0xbe11bafb, v5
	v_add_f32_e32 v16, v16, v20
	v_mul_f32_e32 v20, 0xbf0a6770, v7
	v_add_f32_e32 v17, v17, v21
	v_add_f32_e32 v18, v18, v23
	v_fma_f32 v21, v4, s8, -v20
	v_mul_f32_e32 v23, 0xbf0a6770, v6
	v_fmac_f32_e32 v20, 0x3f575c64, v4
	v_add_f32_e32 v19, v19, v24
	v_fma_f32 v24, v5, s8, -v23
	v_fmac_f32_e32 v23, 0x3f575c64, v5
	v_add_f32_e32 v20, v20, v25
	v_mul_f32_e32 v25, 0xbe903f40, v7
	v_add_f32_e32 v35, v35, v39
	v_add_f32_e32 v21, v21, v26
	;; [unrolled: 1-line block ×3, first 2 shown]
	v_fma_f32 v26, v4, s12, -v25
	v_mul_f32_e32 v27, 0xbe903f40, v6
	v_fmac_f32_e32 v25, 0xbf75a155, v4
	v_mul_f32_e32 v7, 0x3f68dda4, v7
	v_mul_f32_e32 v6, 0x3f68dda4, v6
	v_add_f32_e32 v36, v36, v42
	v_add_f32_e32 v37, v37, v43
	;; [unrolled: 1-line block ×6, first 2 shown]
	v_fma_f32 v28, v5, s12, -v27
	v_fmac_f32_e32 v27, 0xbf75a155, v5
	v_add_f32_e32 v25, v25, v29
	v_fma_f32 v29, v4, s7, -v7
	v_mov_b32_e32 v30, v6
	v_fmac_f32_e32 v7, 0x3ed4b147, v4
	v_add_f32_e32 v32, v32, v36
	v_add_f32_e32 v33, v33, v37
	;; [unrolled: 1-line block ×4, first 2 shown]
	v_fmac_f32_e32 v30, 0x3ed4b147, v5
	v_add_f32_e32 v31, v7, v2
	v_fma_f32 v2, v5, s7, -v6
	v_sub_f32_e32 v35, v12, v14
	v_sub_f32_e32 v36, v13, v15
	v_add_f32_e32 v28, v28, v32
	v_add_f32_e32 v29, v29, v33
	;; [unrolled: 1-line block ×6, first 2 shown]
	v_mul_f32_e32 v4, 0xbe903f40, v36
	v_mul_f32_e32 v3, 0xbe903f40, v35
	v_fma_f32 v2, v33, s12, -v4
	v_fma_f32 v5, v34, s12, -v3
	v_fmac_f32_e32 v3, 0xbf75a155, v34
	v_fmac_f32_e32 v4, 0xbf75a155, v33
	v_mul_f32_e32 v12, 0xbf4178ce, v36
	v_add_f32_e32 v3, v3, v11
	v_add_f32_e32 v4, v4, v8
	;; [unrolled: 1-line block ×3, first 2 shown]
	v_mul_f32_e32 v8, 0x3f0a6770, v36
	v_mul_f32_e32 v7, 0x3f0a6770, v35
	v_fma_f32 v10, v33, s9, -v12
	v_mul_f32_e32 v11, 0xbf4178ce, v35
	v_add_f32_e32 v2, v2, v9
	v_fma_f32 v6, v33, s8, -v8
	v_fma_f32 v9, v34, s8, -v7
	v_fmac_f32_e32 v8, 0x3f575c64, v33
	v_add_f32_e32 v10, v10, v21
	v_fma_f32 v13, v34, s9, -v11
	v_fmac_f32_e32 v11, 0xbf27a4f4, v34
	v_fmac_f32_e32 v12, 0xbf27a4f4, v33
	v_mul_f32_e32 v21, 0xbf7d64f0, v35
	v_fmac_f32_e32 v7, 0x3f575c64, v34
	v_add_f32_e32 v8, v8, v16
	v_add_f32_e32 v9, v9, v19
	;; [unrolled: 1-line block ×4, first 2 shown]
	v_mul_f32_e32 v16, 0x3f68dda4, v36
	v_mul_f32_e32 v15, 0x3f68dda4, v35
	;; [unrolled: 1-line block ×3, first 2 shown]
	v_mov_b32_e32 v19, v21
	v_mul_lo_u16_e32 v23, 11, v76
	v_add_f32_e32 v6, v6, v17
	v_add_f32_e32 v7, v7, v18
	v_fma_f32 v14, v33, s7, -v16
	v_fma_f32 v17, v34, s7, -v15
	v_fmac_f32_e32 v15, 0x3ed4b147, v34
	v_fmac_f32_e32 v16, 0x3ed4b147, v33
	v_fma_f32 v18, v33, s6, -v20
	v_fmac_f32_e32 v19, 0xbe11bafb, v34
	v_fmac_f32_e32 v20, 0xbe11bafb, v33
	v_fma_f32 v21, v34, s6, -v21
	v_lshl_add_u32 v82, v23, 3, v22
	v_add_f32_e32 v13, v13, v24
	v_add_f32_e32 v14, v14, v26
	;; [unrolled: 1-line block ×9, first 2 shown]
	s_barrier
	ds_write2_b64 v82, v[0:1], v[2:3] offset1:1
	ds_write2_b64 v82, v[6:7], v[10:11] offset0:2 offset1:3
	ds_write2_b64 v82, v[14:15], v[18:19] offset0:4 offset1:5
	;; [unrolled: 1-line block ×4, first 2 shown]
	ds_write_b64 v82, v[4:5] offset:80
	v_mul_lo_u16_sdwa v0, v76, s13 dst_sel:DWORD dst_unused:UNUSED_PAD src0_sel:BYTE_0 src1_sel:DWORD
	v_sub_u16_sdwa v1, v76, v0 dst_sel:DWORD dst_unused:UNUSED_PAD src0_sel:DWORD src1_sel:BYTE_1
	v_lshrrev_b16_e32 v1, 1, v1
	v_and_b32_e32 v1, 0x7f, v1
	v_add_u16_sdwa v0, v1, v0 dst_sel:DWORD dst_unused:UNUSED_PAD src0_sel:DWORD src1_sel:BYTE_1
	v_lshrrev_b16_e32 v23, 3, v0
	v_mul_lo_u16_e32 v0, 11, v23
	v_sub_u16_e32 v24, v76, v0
	v_mov_b32_e32 v0, 10
	v_mul_u32_u24_sdwa v0, v24, v0 dst_sel:DWORD dst_unused:UNUSED_PAD src0_sel:BYTE_0 src1_sel:DWORD
	v_lshlrev_b32_e32 v20, 3, v0
	s_waitcnt lgkmcnt(0)
	s_barrier
	global_load_dwordx4 v[16:19], v20, s[10:11]
	global_load_dwordx4 v[12:15], v20, s[10:11] offset:16
	global_load_dwordx4 v[4:7], v20, s[10:11] offset:32
	;; [unrolled: 1-line block ×4, first 2 shown]
	ds_read2_b64 v[42:45], v75 offset1:121
	ds_read2_b64 v[25:28], v80 offset0:114 offset1:235
	ds_read2_b64 v[35:38], v79 offset0:100 offset1:221
	;; [unrolled: 1-line block ×4, first 2 shown]
	ds_read_b64 v[20:21], v75 offset:9680
	v_mul_u32_u24_e32 v23, 0x79, v23
	v_add_u32_sdwa v23, v23, v24 dst_sel:DWORD dst_unused:UNUSED_PAD src0_sel:DWORD src1_sel:BYTE_0
	s_waitcnt vmcnt(0) lgkmcnt(0)
	s_barrier
	s_movk_i32 s13, 0x50
	v_mul_f32_e32 v29, v45, v17
	v_fma_f32 v39, v44, v16, -v29
	v_mul_f32_e32 v44, v44, v17
	v_mul_f32_e32 v29, v26, v19
	v_fmac_f32_e32 v44, v45, v16
	v_fma_f32 v45, v25, v18, -v29
	v_mul_f32_e32 v81, v25, v19
	v_mul_f32_e32 v25, v28, v13
	v_fma_f32 v34, v27, v12, -v25
	v_mul_f32_e32 v33, v27, v13
	v_mul_f32_e32 v27, v72, v7
	v_fmac_f32_e32 v33, v28, v12
	v_fma_f32 v28, v71, v6, -v27
	v_mul_f32_e32 v27, v71, v7
	v_mul_f32_e32 v71, v21, v11
	v_fmac_f32_e32 v27, v72, v6
	v_fma_f32 v71, v20, v10, -v71
	v_mul_f32_e32 v72, v20, v11
	v_add_f32_e32 v20, v42, v39
	v_fmac_f32_e32 v81, v26, v18
	v_mul_f32_e32 v25, v36, v15
	v_fmac_f32_e32 v72, v21, v10
	v_add_f32_e32 v21, v43, v44
	v_add_f32_e32 v20, v20, v45
	v_fma_f32 v30, v35, v14, -v25
	v_mul_f32_e32 v29, v35, v15
	v_mul_f32_e32 v25, v38, v5
	v_add_f32_e32 v21, v21, v81
	v_add_f32_e32 v20, v20, v34
	v_fmac_f32_e32 v29, v36, v14
	v_fma_f32 v26, v37, v4, -v25
	v_mul_f32_e32 v25, v37, v5
	v_add_f32_e32 v21, v21, v33
	v_add_f32_e32 v20, v20, v30
	v_fmac_f32_e32 v25, v38, v4
	v_mul_f32_e32 v31, v74, v1
	v_add_f32_e32 v21, v21, v29
	v_add_f32_e32 v20, v20, v26
	v_fma_f32 v32, v73, v0, -v31
	v_mul_f32_e32 v31, v73, v1
	v_mul_f32_e32 v35, v84, v3
	v_add_f32_e32 v21, v21, v25
	v_add_f32_e32 v20, v20, v28
	v_fmac_f32_e32 v31, v74, v0
	v_fma_f32 v36, v83, v2, -v35
	v_mul_f32_e32 v35, v83, v3
	v_mul_f32_e32 v37, v86, v9
	v_add_f32_e32 v21, v21, v27
	v_add_f32_e32 v20, v20, v32
	v_fmac_f32_e32 v35, v84, v2
	v_fma_f32 v37, v85, v8, -v37
	v_mul_f32_e32 v38, v85, v9
	v_add_f32_e32 v21, v21, v31
	v_add_f32_e32 v20, v20, v36
	v_fmac_f32_e32 v38, v86, v8
	v_add_f32_e32 v21, v21, v35
	v_add_f32_e32 v20, v20, v37
	;; [unrolled: 1-line block ×4, first 2 shown]
	v_sub_f32_e32 v39, v39, v71
	v_sub_f32_e32 v44, v44, v72
	v_add_f32_e32 v21, v21, v38
	v_add_f32_e32 v20, v20, v71
	v_mul_f32_e32 v71, 0xbf0a6770, v44
	v_mul_f32_e32 v83, 0xbf0a6770, v39
	;; [unrolled: 1-line block ×10, first 2 shown]
	v_add_f32_e32 v21, v21, v72
	v_fma_f32 v72, v73, s8, -v71
	v_fmac_f32_e32 v71, 0x3f575c64, v73
	v_fma_f32 v86, v73, s7, -v85
	v_fmac_f32_e32 v85, 0x3ed4b147, v73
	v_fma_f32 v90, v73, s6, -v89
	v_fmac_f32_e32 v89, 0xbe11bafb, v73
	v_fma_f32 v94, v73, s9, -v93
	v_fmac_f32_e32 v93, 0xbf27a4f4, v73
	v_fma_f32 v97, v73, s12, -v44
	v_mov_b32_e32 v98, v39
	v_fmac_f32_e32 v44, 0xbf75a155, v73
	v_add_f32_e32 v72, v42, v72
	v_fma_f32 v84, v74, s8, -v83
	v_fmac_f32_e32 v83, 0x3f575c64, v74
	v_add_f32_e32 v71, v42, v71
	v_add_f32_e32 v86, v42, v86
	v_fma_f32 v88, v74, s7, -v87
	v_fmac_f32_e32 v87, 0x3ed4b147, v74
	v_add_f32_e32 v85, v42, v85
	;; [unrolled: 4-line block ×4, first 2 shown]
	v_add_f32_e32 v97, v42, v97
	v_fmac_f32_e32 v98, 0xbf75a155, v74
	v_add_f32_e32 v42, v42, v44
	v_fma_f32 v39, v74, s12, -v39
	v_add_f32_e32 v44, v81, v38
	v_sub_f32_e32 v38, v81, v38
	v_add_f32_e32 v83, v43, v83
	v_add_f32_e32 v84, v43, v84
	;; [unrolled: 1-line block ×11, first 2 shown]
	v_sub_f32_e32 v37, v45, v37
	v_mul_f32_e32 v45, 0xbf68dda4, v38
	v_fma_f32 v73, v43, s7, -v45
	v_add_f32_e32 v72, v73, v72
	v_mul_f32_e32 v73, 0xbf68dda4, v37
	v_fma_f32 v74, v44, s7, -v73
	v_fmac_f32_e32 v45, 0x3ed4b147, v43
	v_add_f32_e32 v45, v45, v71
	v_add_f32_e32 v71, v74, v84
	v_mul_f32_e32 v74, 0xbf4178ce, v38
	v_fmac_f32_e32 v73, 0x3ed4b147, v44
	v_fma_f32 v81, v43, s9, -v74
	v_fmac_f32_e32 v74, 0xbf27a4f4, v43
	v_add_f32_e32 v73, v73, v83
	v_mul_f32_e32 v83, 0xbf4178ce, v37
	v_add_f32_e32 v74, v74, v85
	v_mul_f32_e32 v85, 0x3e903f40, v38
	v_add_f32_e32 v81, v81, v86
	v_fma_f32 v84, v44, s9, -v83
	v_fmac_f32_e32 v83, 0xbf27a4f4, v44
	v_fma_f32 v86, v43, s12, -v85
	v_fmac_f32_e32 v85, 0xbf75a155, v43
	v_add_f32_e32 v83, v83, v87
	v_mul_f32_e32 v87, 0x3e903f40, v37
	v_add_f32_e32 v85, v85, v89
	v_mul_f32_e32 v89, 0x3f7d64f0, v38
	v_add_f32_e32 v84, v84, v88
	v_add_f32_e32 v86, v86, v90
	v_fma_f32 v88, v44, s12, -v87
	v_fmac_f32_e32 v87, 0xbf75a155, v44
	v_fma_f32 v90, v43, s6, -v89
	v_fmac_f32_e32 v89, 0xbe11bafb, v43
	v_mul_f32_e32 v38, 0x3f0a6770, v38
	v_add_f32_e32 v87, v87, v91
	v_mul_f32_e32 v91, 0x3f7d64f0, v37
	v_add_f32_e32 v89, v89, v93
	v_fma_f32 v93, v43, s8, -v38
	v_mul_f32_e32 v37, 0x3f0a6770, v37
	v_fmac_f32_e32 v38, 0x3f575c64, v43
	v_add_f32_e32 v90, v90, v94
	v_mov_b32_e32 v94, v37
	v_add_f32_e32 v38, v38, v42
	v_fma_f32 v37, v44, s8, -v37
	v_add_f32_e32 v42, v33, v35
	v_sub_f32_e32 v33, v33, v35
	v_add_f32_e32 v37, v37, v39
	v_add_f32_e32 v39, v34, v36
	v_sub_f32_e32 v34, v34, v36
	v_mul_f32_e32 v35, 0xbf7d64f0, v33
	v_fma_f32 v36, v39, s6, -v35
	v_mul_f32_e32 v43, 0xbf7d64f0, v34
	v_fmac_f32_e32 v35, 0xbe11bafb, v39
	v_add_f32_e32 v88, v88, v92
	v_fma_f32 v92, v44, s6, -v91
	v_fmac_f32_e32 v91, 0xbe11bafb, v44
	v_fmac_f32_e32 v94, 0x3f575c64, v44
	v_fma_f32 v44, v42, s6, -v43
	v_add_f32_e32 v35, v35, v45
	v_mul_f32_e32 v45, 0x3e903f40, v33
	v_add_f32_e32 v44, v44, v71
	v_fma_f32 v71, v39, s12, -v45
	v_fmac_f32_e32 v45, 0xbf75a155, v39
	v_add_f32_e32 v36, v36, v72
	v_fmac_f32_e32 v43, 0xbe11bafb, v42
	v_mul_f32_e32 v72, 0x3e903f40, v34
	v_add_f32_e32 v45, v45, v74
	v_mul_f32_e32 v74, 0x3f68dda4, v33
	v_add_f32_e32 v43, v43, v73
	v_add_f32_e32 v71, v71, v81
	v_fma_f32 v73, v42, s12, -v72
	v_fmac_f32_e32 v72, 0xbf75a155, v42
	v_fma_f32 v81, v39, s7, -v74
	v_fmac_f32_e32 v74, 0x3ed4b147, v39
	v_add_f32_e32 v72, v72, v83
	v_mul_f32_e32 v83, 0x3f68dda4, v34
	v_add_f32_e32 v74, v74, v85
	v_mul_f32_e32 v85, 0xbf0a6770, v33
	v_add_f32_e32 v73, v73, v84
	v_add_f32_e32 v81, v81, v86
	v_fma_f32 v84, v42, s7, -v83
	v_fmac_f32_e32 v83, 0x3ed4b147, v42
	v_fma_f32 v86, v39, s8, -v85
	v_fmac_f32_e32 v85, 0x3f575c64, v39
	v_mul_f32_e32 v33, 0xbf4178ce, v33
	v_add_f32_e32 v83, v83, v87
	v_mul_f32_e32 v87, 0xbf0a6770, v34
	v_add_f32_e32 v85, v85, v89
	v_fma_f32 v89, v39, s9, -v33
	v_mul_f32_e32 v34, 0xbf4178ce, v34
	v_fmac_f32_e32 v33, 0xbf27a4f4, v39
	v_add_f32_e32 v86, v86, v90
	v_mov_b32_e32 v90, v34
	v_add_f32_e32 v33, v33, v38
	v_fma_f32 v34, v42, s9, -v34
	v_add_f32_e32 v38, v29, v31
	v_sub_f32_e32 v29, v29, v31
	v_add_f32_e32 v34, v34, v37
	v_add_f32_e32 v37, v30, v32
	v_mul_f32_e32 v31, 0xbf4178ce, v29
	v_sub_f32_e32 v30, v30, v32
	v_fma_f32 v32, v37, s9, -v31
	v_add_f32_e32 v32, v32, v36
	v_mul_f32_e32 v36, 0xbf4178ce, v30
	v_fma_f32 v39, v38, s9, -v36
	v_fmac_f32_e32 v31, 0xbf27a4f4, v37
	v_fmac_f32_e32 v36, 0xbf27a4f4, v38
	v_add_f32_e32 v31, v31, v35
	v_add_f32_e32 v35, v39, v44
	v_mul_f32_e32 v39, 0x3f7d64f0, v29
	v_add_f32_e32 v84, v84, v88
	v_fma_f32 v88, v42, s8, -v87
	v_fmac_f32_e32 v87, 0x3f575c64, v42
	v_fmac_f32_e32 v90, 0xbf27a4f4, v42
	v_add_f32_e32 v36, v36, v43
	v_fma_f32 v42, v37, s6, -v39
	v_mul_f32_e32 v43, 0x3f7d64f0, v30
	v_fmac_f32_e32 v39, 0xbe11bafb, v37
	v_fma_f32 v44, v38, s6, -v43
	v_fmac_f32_e32 v43, 0xbe11bafb, v38
	v_add_f32_e32 v39, v39, v45
	v_mul_f32_e32 v45, 0xbf0a6770, v29
	v_add_f32_e32 v42, v42, v71
	v_add_f32_e32 v43, v43, v72
	v_fma_f32 v71, v37, s8, -v45
	v_mul_f32_e32 v72, 0xbf0a6770, v30
	v_fmac_f32_e32 v45, 0x3f575c64, v37
	v_add_f32_e32 v44, v44, v73
	v_fma_f32 v73, v38, s8, -v72
	v_fmac_f32_e32 v72, 0x3f575c64, v38
	v_add_f32_e32 v45, v45, v74
	v_mul_f32_e32 v74, 0xbe903f40, v29
	v_add_f32_e32 v71, v71, v81
	v_add_f32_e32 v72, v72, v83
	v_fma_f32 v81, v37, s12, -v74
	v_mul_f32_e32 v83, 0xbe903f40, v30
	v_mul_f32_e32 v30, 0x3f68dda4, v30
	v_add_f32_e32 v92, v92, v96
	v_add_f32_e32 v93, v93, v97
	;; [unrolled: 1-line block ×4, first 2 shown]
	v_fmac_f32_e32 v74, 0xbf75a155, v37
	v_mul_f32_e32 v29, 0x3f68dda4, v29
	v_mov_b32_e32 v86, v30
	v_add_f32_e32 v88, v88, v92
	v_add_f32_e32 v89, v89, v93
	;; [unrolled: 1-line block ×4, first 2 shown]
	v_fma_f32 v85, v37, s7, -v29
	v_fmac_f32_e32 v86, 0x3ed4b147, v38
	v_sub_f32_e32 v92, v25, v27
	v_add_f32_e32 v91, v91, v95
	v_add_f32_e32 v85, v85, v89
	;; [unrolled: 1-line block ×5, first 2 shown]
	v_mul_f32_e32 v27, 0xbe903f40, v92
	v_add_f32_e32 v87, v87, v91
	v_add_f32_e32 v73, v73, v84
	v_fma_f32 v84, v38, s12, -v83
	v_fmac_f32_e32 v83, 0xbf75a155, v38
	v_fmac_f32_e32 v29, 0x3ed4b147, v37
	v_fma_f32 v25, v89, s12, -v27
	v_fmac_f32_e32 v27, 0xbf75a155, v89
	v_add_f32_e32 v83, v83, v87
	v_add_f32_e32 v87, v29, v33
	v_fma_f32 v29, v38, s7, -v30
	v_sub_f32_e32 v91, v26, v28
	v_add_f32_e32 v27, v27, v31
	v_mul_f32_e32 v31, 0x3f0a6770, v92
	v_add_f32_e32 v84, v84, v88
	v_add_f32_e32 v88, v29, v34
	v_mul_f32_e32 v26, 0xbe903f40, v91
	v_fma_f32 v29, v89, s8, -v31
	v_fmac_f32_e32 v31, 0x3f575c64, v89
	v_fma_f32 v28, v90, s12, -v26
	v_fmac_f32_e32 v26, 0xbf75a155, v90
	v_add_f32_e32 v31, v31, v39
	v_mul_f32_e32 v34, 0xbf4178ce, v91
	v_mul_f32_e32 v39, 0x3f68dda4, v92
	v_add_f32_e32 v26, v26, v36
	v_add_f32_e32 v28, v28, v35
	v_mul_f32_e32 v30, 0x3f0a6770, v91
	v_mul_f32_e32 v35, 0xbf4178ce, v92
	v_fma_f32 v36, v90, s9, -v34
	v_fmac_f32_e32 v34, 0xbf27a4f4, v90
	v_fma_f32 v37, v89, s7, -v39
	v_fmac_f32_e32 v39, 0x3ed4b147, v89
	v_add_f32_e32 v25, v25, v32
	v_add_f32_e32 v29, v29, v42
	v_fma_f32 v32, v90, s8, -v30
	v_fma_f32 v33, v89, s9, -v35
	v_add_f32_e32 v34, v34, v72
	v_fmac_f32_e32 v35, 0xbf27a4f4, v89
	v_add_f32_e32 v42, v39, v74
	v_mul_f32_e32 v39, 0xbf7d64f0, v92
	v_mul_f32_e32 v72, 0xbf7d64f0, v91
	v_fmac_f32_e32 v30, 0x3f575c64, v90
	v_add_f32_e32 v32, v32, v44
	v_add_f32_e32 v35, v35, v45
	v_mul_f32_e32 v38, 0x3f68dda4, v91
	v_fma_f32 v44, v89, s6, -v39
	v_mov_b32_e32 v45, v72
	v_fmac_f32_e32 v39, 0xbe11bafb, v89
	v_add_f32_e32 v30, v30, v43
	v_add_f32_e32 v33, v33, v71
	;; [unrolled: 1-line block ×3, first 2 shown]
	v_fma_f32 v43, v90, s7, -v38
	v_fmac_f32_e32 v38, 0x3ed4b147, v90
	v_fmac_f32_e32 v45, 0xbe11bafb, v90
	v_add_f32_e32 v71, v39, v87
	v_fma_f32 v39, v90, s6, -v72
	v_lshl_add_u32 v81, v23, 3, v22
	v_add_f32_e32 v36, v36, v73
	v_add_f32_e32 v38, v38, v83
	;; [unrolled: 1-line block ×6, first 2 shown]
	ds_write2_b64 v81, v[20:21], v[25:26] offset1:11
	ds_write2_b64 v81, v[29:30], v[33:34] offset0:22 offset1:33
	ds_write2_b64 v81, v[37:38], v[44:45] offset0:44 offset1:55
	;; [unrolled: 1-line block ×4, first 2 shown]
	ds_write_b64 v81, v[27:28] offset:880
	v_mov_b32_e32 v21, s11
	v_mov_b32_e32 v20, s10
	v_mad_u64_u32 v[42:43], s[10:11], v76, s13, v[20:21]
	s_waitcnt lgkmcnt(0)
	s_barrier
	global_load_dwordx4 v[32:35], v[42:43], off offset:880
	global_load_dwordx4 v[28:31], v[42:43], off offset:896
	;; [unrolled: 1-line block ×5, first 2 shown]
	ds_read2_b64 v[87:90], v75 offset1:121
	ds_read2_b64 v[42:45], v80 offset0:114 offset1:235
	ds_read2_b64 v[91:94], v79 offset0:100 offset1:221
	;; [unrolled: 1-line block ×4, first 2 shown]
	ds_read_b64 v[103:104], v75 offset:9680
	s_movk_i32 s10, 0x2998
	s_waitcnt vmcnt(4) lgkmcnt(5)
	v_mul_f32_e32 v71, v90, v33
	v_fma_f32 v105, v89, v32, -v71
	v_mul_f32_e32 v89, v89, v33
	s_waitcnt lgkmcnt(4)
	v_mul_f32_e32 v71, v43, v35
	v_fmac_f32_e32 v89, v90, v32
	v_fma_f32 v90, v42, v34, -v71
	v_mul_f32_e32 v106, v42, v35
	s_waitcnt vmcnt(3)
	v_mul_f32_e32 v42, v45, v29
	v_fma_f32 v86, v44, v28, -v42
	s_waitcnt lgkmcnt(3)
	v_mul_f32_e32 v42, v92, v31
	v_mul_f32_e32 v85, v44, v29
	v_fma_f32 v74, v91, v30, -v42
	s_waitcnt vmcnt(2)
	v_mul_f32_e32 v42, v94, v25
	v_fmac_f32_e32 v85, v45, v28
	v_fma_f32 v45, v93, v24, -v42
	s_waitcnt lgkmcnt(2)
	v_mul_f32_e32 v42, v96, v27
	v_fma_f32 v72, v95, v26, -v42
	s_waitcnt vmcnt(1)
	v_mul_f32_e32 v42, v98, v21
	v_fma_f32 v84, v97, v20, -v42
	s_waitcnt lgkmcnt(1)
	v_mul_f32_e32 v42, v100, v23
	v_mul_f32_e32 v73, v91, v31
	v_fma_f32 v91, v99, v22, -v42
	s_waitcnt vmcnt(0)
	v_mul_f32_e32 v42, v102, v37
	v_mul_f32_e32 v44, v93, v25
	v_fma_f32 v93, v101, v36, -v42
	s_waitcnt lgkmcnt(0)
	v_mul_f32_e32 v42, v104, v39
	v_mul_f32_e32 v71, v95, v27
	v_fma_f32 v95, v103, v38, -v42
	v_add_f32_e32 v42, v87, v105
	v_fmac_f32_e32 v106, v43, v34
	v_add_f32_e32 v43, v88, v89
	v_add_f32_e32 v42, v42, v90
	;; [unrolled: 1-line block ×4, first 2 shown]
	v_fmac_f32_e32 v73, v92, v30
	v_add_f32_e32 v43, v43, v85
	v_add_f32_e32 v42, v42, v74
	v_fmac_f32_e32 v44, v94, v24
	v_add_f32_e32 v43, v43, v73
	v_add_f32_e32 v42, v42, v45
	v_fmac_f32_e32 v71, v96, v26
	v_mul_f32_e32 v83, v97, v21
	v_add_f32_e32 v43, v43, v44
	v_add_f32_e32 v42, v42, v72
	v_fmac_f32_e32 v83, v98, v20
	v_mul_f32_e32 v92, v99, v23
	;; [unrolled: 4-line block ×3, first 2 shown]
	v_mul_f32_e32 v96, v103, v39
	v_add_f32_e32 v43, v43, v83
	v_add_f32_e32 v42, v42, v91
	v_fmac_f32_e32 v94, v102, v36
	v_fmac_f32_e32 v96, v104, v38
	v_add_f32_e32 v43, v43, v92
	v_add_f32_e32 v42, v42, v93
	;; [unrolled: 1-line block ×6, first 2 shown]
	v_sub_f32_e32 v95, v105, v95
	v_sub_f32_e32 v89, v89, v96
	v_add_f32_e32 v43, v43, v96
	v_mul_f32_e32 v96, 0xbf0a6770, v89
	v_mul_f32_e32 v100, 0xbf0a6770, v95
	;; [unrolled: 1-line block ×10, first 2 shown]
	v_fma_f32 v99, v97, s8, -v96
	v_fmac_f32_e32 v96, 0x3f575c64, v97
	v_fma_f32 v103, v97, s7, -v102
	v_fmac_f32_e32 v102, 0x3ed4b147, v97
	;; [unrolled: 2-line block ×4, first 2 shown]
	v_fma_f32 v115, v97, s12, -v89
	v_mov_b32_e32 v116, v95
	v_fmac_f32_e32 v89, 0xbf75a155, v97
	v_add_f32_e32 v99, v87, v99
	v_fma_f32 v101, v98, s8, -v100
	v_fmac_f32_e32 v100, 0x3f575c64, v98
	v_add_f32_e32 v96, v87, v96
	v_add_f32_e32 v103, v87, v103
	v_fma_f32 v105, v98, s7, -v104
	v_fmac_f32_e32 v104, 0x3ed4b147, v98
	v_add_f32_e32 v102, v87, v102
	;; [unrolled: 4-line block ×4, first 2 shown]
	v_add_f32_e32 v115, v87, v115
	v_fmac_f32_e32 v116, 0xbf75a155, v98
	v_add_f32_e32 v87, v87, v89
	v_fma_f32 v89, v98, s12, -v95
	v_add_f32_e32 v100, v88, v100
	v_add_f32_e32 v101, v88, v101
	;; [unrolled: 1-line block ×11, first 2 shown]
	v_sub_f32_e32 v90, v90, v93
	v_sub_f32_e32 v93, v106, v94
	v_add_f32_e32 v95, v106, v94
	v_mul_f32_e32 v94, 0xbf68dda4, v93
	v_fma_f32 v97, v89, s7, -v94
	v_mul_f32_e32 v98, 0xbf68dda4, v90
	v_add_f32_e32 v97, v97, v99
	v_fma_f32 v99, v95, s7, -v98
	v_fmac_f32_e32 v94, 0x3ed4b147, v89
	v_fmac_f32_e32 v98, 0x3ed4b147, v95
	v_add_f32_e32 v94, v94, v96
	v_add_f32_e32 v96, v99, v101
	v_mul_f32_e32 v99, 0xbf4178ce, v93
	v_add_f32_e32 v98, v98, v100
	v_fma_f32 v100, v89, s9, -v99
	v_mul_f32_e32 v101, 0xbf4178ce, v90
	v_add_f32_e32 v100, v100, v103
	v_fma_f32 v103, v95, s9, -v101
	v_fmac_f32_e32 v99, 0xbf27a4f4, v89
	v_fmac_f32_e32 v101, 0xbf27a4f4, v95
	v_add_f32_e32 v99, v99, v102
	v_add_f32_e32 v102, v103, v105
	v_mul_f32_e32 v103, 0x3e903f40, v93
	v_add_f32_e32 v101, v101, v104
	v_fma_f32 v104, v89, s12, -v103
	v_mul_f32_e32 v105, 0x3e903f40, v90
	v_fmac_f32_e32 v103, 0xbf75a155, v89
	v_fma_f32 v106, v95, s12, -v105
	v_fmac_f32_e32 v105, 0xbf75a155, v95
	v_add_f32_e32 v103, v103, v107
	v_mul_f32_e32 v107, 0x3f7d64f0, v93
	v_add_f32_e32 v104, v104, v108
	v_add_f32_e32 v105, v105, v109
	v_fma_f32 v108, v89, s6, -v107
	v_mul_f32_e32 v109, 0x3f7d64f0, v90
	v_fmac_f32_e32 v107, 0xbe11bafb, v89
	v_mul_f32_e32 v93, 0x3f0a6770, v93
	v_mul_f32_e32 v90, 0x3f0a6770, v90
	v_add_f32_e32 v107, v107, v111
	v_fma_f32 v111, v89, s8, -v93
	v_fmac_f32_e32 v93, 0x3f575c64, v89
	v_fma_f32 v89, v95, s8, -v90
	v_add_f32_e32 v108, v108, v112
	v_mov_b32_e32 v112, v90
	v_add_f32_e32 v88, v89, v88
	v_add_f32_e32 v89, v86, v91
	;; [unrolled: 1-line block ×3, first 2 shown]
	v_sub_f32_e32 v86, v86, v91
	v_sub_f32_e32 v85, v85, v92
	v_add_f32_e32 v87, v93, v87
	v_mul_f32_e32 v91, 0xbf7d64f0, v85
	v_mul_f32_e32 v93, 0xbf7d64f0, v86
	v_add_f32_e32 v106, v106, v110
	v_fma_f32 v110, v95, s6, -v109
	v_fmac_f32_e32 v109, 0xbe11bafb, v95
	v_fmac_f32_e32 v112, 0x3f575c64, v95
	v_fma_f32 v92, v89, s6, -v91
	v_fma_f32 v95, v90, s6, -v93
	v_fmac_f32_e32 v91, 0xbe11bafb, v89
	v_add_f32_e32 v91, v91, v94
	v_add_f32_e32 v94, v95, v96
	v_mul_f32_e32 v95, 0x3e903f40, v85
	v_add_f32_e32 v92, v92, v97
	v_fmac_f32_e32 v93, 0xbe11bafb, v90
	v_fma_f32 v96, v89, s12, -v95
	v_mul_f32_e32 v97, 0x3e903f40, v86
	v_fmac_f32_e32 v95, 0xbf75a155, v89
	v_add_f32_e32 v93, v93, v98
	v_fma_f32 v98, v90, s12, -v97
	v_fmac_f32_e32 v97, 0xbf75a155, v90
	v_add_f32_e32 v95, v95, v99
	v_mul_f32_e32 v99, 0x3f68dda4, v85
	v_add_f32_e32 v96, v96, v100
	v_add_f32_e32 v97, v97, v101
	v_fma_f32 v100, v89, s7, -v99
	v_mul_f32_e32 v101, 0x3f68dda4, v86
	v_fmac_f32_e32 v99, 0x3ed4b147, v89
	v_add_f32_e32 v98, v98, v102
	v_fma_f32 v102, v90, s7, -v101
	v_fmac_f32_e32 v101, 0x3ed4b147, v90
	v_add_f32_e32 v99, v99, v103
	v_mul_f32_e32 v103, 0xbf0a6770, v85
	v_add_f32_e32 v100, v100, v104
	v_add_f32_e32 v101, v101, v105
	v_fma_f32 v104, v89, s8, -v103
	v_mul_f32_e32 v105, 0xbf0a6770, v86
	v_mul_f32_e32 v86, 0xbf4178ce, v86
	v_add_f32_e32 v104, v104, v108
	v_fmac_f32_e32 v103, 0x3f575c64, v89
	v_mul_f32_e32 v85, 0xbf4178ce, v85
	v_mov_b32_e32 v108, v86
	v_fma_f32 v86, v90, s9, -v86
	v_add_f32_e32 v103, v103, v107
	v_fma_f32 v107, v89, s9, -v85
	v_fmac_f32_e32 v85, 0xbf27a4f4, v89
	v_add_f32_e32 v86, v86, v88
	v_add_f32_e32 v88, v73, v83
	v_sub_f32_e32 v73, v73, v83
	v_add_f32_e32 v85, v85, v87
	v_add_f32_e32 v87, v74, v84
	v_sub_f32_e32 v74, v74, v84
	v_mul_f32_e32 v83, 0xbf4178ce, v73
	v_fma_f32 v84, v87, s9, -v83
	v_mul_f32_e32 v89, 0xbf4178ce, v74
	v_fmac_f32_e32 v83, 0xbf27a4f4, v87
	v_add_f32_e32 v102, v102, v106
	v_fma_f32 v106, v90, s8, -v105
	v_fmac_f32_e32 v105, 0x3f575c64, v90
	v_fmac_f32_e32 v108, 0xbf27a4f4, v90
	v_fma_f32 v90, v88, s9, -v89
	v_fmac_f32_e32 v89, 0xbf27a4f4, v88
	v_add_f32_e32 v83, v83, v91
	v_mul_f32_e32 v91, 0x3f7d64f0, v73
	v_add_f32_e32 v84, v84, v92
	v_add_f32_e32 v89, v89, v93
	v_fma_f32 v92, v87, s6, -v91
	v_mul_f32_e32 v93, 0x3f7d64f0, v74
	v_fmac_f32_e32 v91, 0xbe11bafb, v87
	v_add_f32_e32 v90, v90, v94
	v_fma_f32 v94, v88, s6, -v93
	v_fmac_f32_e32 v93, 0xbe11bafb, v88
	v_add_f32_e32 v91, v91, v95
	v_mul_f32_e32 v95, 0xbf0a6770, v73
	v_add_f32_e32 v92, v92, v96
	v_add_f32_e32 v93, v93, v97
	v_fma_f32 v96, v87, s8, -v95
	v_mul_f32_e32 v97, 0xbf0a6770, v74
	v_fmac_f32_e32 v95, 0x3f575c64, v87
	v_add_f32_e32 v94, v94, v98
	v_fma_f32 v98, v88, s8, -v97
	v_fmac_f32_e32 v97, 0x3f575c64, v88
	v_add_f32_e32 v95, v95, v99
	v_mul_f32_e32 v99, 0xbe903f40, v73
	v_add_f32_e32 v96, v96, v100
	v_add_f32_e32 v97, v97, v101
	v_fma_f32 v100, v87, s12, -v99
	v_mul_f32_e32 v101, 0xbe903f40, v74
	v_mul_f32_e32 v74, 0x3f68dda4, v74
	v_add_f32_e32 v110, v110, v114
	v_add_f32_e32 v111, v111, v115
	;; [unrolled: 1-line block ×4, first 2 shown]
	v_fmac_f32_e32 v99, 0xbf75a155, v87
	v_mul_f32_e32 v73, 0x3f68dda4, v73
	v_mov_b32_e32 v104, v74
	v_add_f32_e32 v106, v106, v110
	v_add_f32_e32 v107, v107, v111
	;; [unrolled: 1-line block ×4, first 2 shown]
	v_fma_f32 v103, v87, s7, -v73
	v_fmac_f32_e32 v104, 0x3ed4b147, v88
	v_sub_f32_e32 v110, v44, v71
	v_add_f32_e32 v109, v109, v113
	v_add_f32_e32 v103, v103, v107
	v_add_f32_e32 v104, v104, v108
	v_add_f32_e32 v107, v45, v72
	v_add_f32_e32 v108, v44, v71
	v_mul_f32_e32 v44, 0xbe903f40, v110
	v_add_f32_e32 v105, v105, v109
	v_add_f32_e32 v98, v98, v102
	v_fma_f32 v102, v88, s12, -v101
	v_fmac_f32_e32 v101, 0xbf75a155, v88
	v_fmac_f32_e32 v73, 0x3ed4b147, v87
	v_sub_f32_e32 v109, v45, v72
	v_fma_f32 v45, v107, s12, -v44
	v_add_f32_e32 v101, v101, v105
	v_add_f32_e32 v105, v73, v85
	v_fma_f32 v73, v88, s7, -v74
	v_add_f32_e32 v71, v45, v84
	v_mul_f32_e32 v45, 0xbe903f40, v109
	v_fmac_f32_e32 v44, 0xbf75a155, v107
	v_mul_f32_e32 v87, 0xbf4178ce, v110
	v_add_f32_e32 v102, v102, v106
	v_add_f32_e32 v106, v73, v86
	v_fma_f32 v73, v108, s12, -v45
	v_fmac_f32_e32 v45, 0xbf75a155, v108
	v_add_f32_e32 v44, v44, v83
	v_mul_f32_e32 v83, 0x3f0a6770, v110
	v_mul_f32_e32 v74, 0x3f0a6770, v109
	v_fma_f32 v85, v107, s9, -v87
	v_add_f32_e32 v72, v45, v89
	v_add_f32_e32 v45, v73, v90
	v_fma_f32 v73, v107, s8, -v83
	v_fma_f32 v84, v108, s8, -v74
	v_fmac_f32_e32 v83, 0x3f575c64, v107
	v_add_f32_e32 v85, v85, v96
	v_fmac_f32_e32 v87, 0xbf27a4f4, v107
	v_mul_f32_e32 v96, 0xbf7d64f0, v109
	v_fmac_f32_e32 v74, 0x3f575c64, v108
	v_add_f32_e32 v83, v83, v91
	v_add_f32_e32 v84, v84, v94
	v_mul_f32_e32 v86, 0xbf4178ce, v109
	v_add_f32_e32 v87, v87, v95
	v_mul_f32_e32 v91, 0x3f68dda4, v110
	v_mul_f32_e32 v90, 0x3f68dda4, v109
	;; [unrolled: 1-line block ×3, first 2 shown]
	v_mov_b32_e32 v94, v96
	v_add_f32_e32 v73, v73, v92
	v_add_f32_e32 v74, v74, v93
	v_fma_f32 v88, v108, s9, -v86
	v_fmac_f32_e32 v86, 0xbf27a4f4, v108
	v_fma_f32 v89, v107, s7, -v91
	v_fma_f32 v92, v108, s7, -v90
	v_fmac_f32_e32 v90, 0x3ed4b147, v108
	v_fmac_f32_e32 v91, 0x3ed4b147, v107
	v_fma_f32 v93, v107, s6, -v95
	v_fmac_f32_e32 v94, 0xbe11bafb, v108
	v_fmac_f32_e32 v95, 0xbe11bafb, v107
	v_fma_f32 v96, v108, s6, -v96
	v_add_f32_e32 v86, v86, v97
	v_add_f32_e32 v88, v88, v98
	;; [unrolled: 1-line block ×10, first 2 shown]
	ds_write2_b64 v75, v[42:43], v[71:72] offset1:121
	ds_write2_b64 v80, v[73:74], v[85:86] offset0:114 offset1:235
	ds_write2_b64 v79, v[89:90], v[93:94] offset0:100 offset1:221
	;; [unrolled: 1-line block ×4, first 2 shown]
	ds_write_b64 v75, v[44:45] offset:9680
	s_waitcnt lgkmcnt(0)
	s_barrier
	global_load_dwordx2 v[44:45], v[40:41], off offset:2456
	v_add_co_u32_e32 v40, vcc, s10, v46
	v_addc_co_u32_e32 v41, vcc, 0, v47, vcc
	global_load_dwordx2 v[73:74], v[40:41], off offset:968
	global_load_dwordx2 v[83:84], v[40:41], off offset:1936
	;; [unrolled: 1-line block ×4, first 2 shown]
	s_movk_i32 s10, 0x3000
	v_add_co_u32_e32 v40, vcc, s10, v46
	v_addc_co_u32_e32 v41, vcc, 0, v47, vcc
	global_load_dwordx2 v[89:90], v[40:41], off offset:3200
	s_movk_i32 s10, 0x4000
	v_add_co_u32_e32 v40, vcc, s10, v46
	v_addc_co_u32_e32 v41, vcc, 0, v47, vcc
	global_load_dwordx2 v[91:92], v[40:41], off offset:72
	global_load_dwordx2 v[93:94], v[40:41], off offset:1040
	;; [unrolled: 1-line block ×5, first 2 shown]
	ds_read2_b64 v[40:43], v75 offset1:121
	v_mad_u64_u32 v[71:72], s[10:11], s2, v58, 0
	s_waitcnt vmcnt(10) lgkmcnt(0)
	v_mul_f32_e32 v46, v41, v45
	v_mul_f32_e32 v102, v40, v45
	v_fma_f32 v101, v40, v44, -v46
	v_fmac_f32_e32 v102, v41, v44
	ds_read2_b64 v[44:47], v80 offset0:114 offset1:235
	s_waitcnt vmcnt(9)
	v_mul_f32_e32 v40, v43, v74
	v_mul_f32_e32 v41, v42, v74
	v_fma_f32 v40, v42, v73, -v40
	v_fmac_f32_e32 v41, v43, v73
	ds_write2_b64 v75, v[101:102], v[40:41] offset1:121
	s_waitcnt vmcnt(8) lgkmcnt(1)
	v_mul_f32_e32 v40, v45, v84
	v_fma_f32 v73, v44, v83, -v40
	ds_read2_b64 v[40:43], v79 offset0:100 offset1:221
	v_mul_f32_e32 v74, v44, v84
	v_fmac_f32_e32 v74, v45, v83
	s_waitcnt vmcnt(7)
	v_mul_f32_e32 v44, v47, v86
	v_mul_f32_e32 v45, v46, v86
	v_fma_f32 v44, v46, v85, -v44
	v_fmac_f32_e32 v45, v47, v85
	ds_write2_b64 v80, v[73:74], v[44:45] offset0:114 offset1:235
	s_waitcnt vmcnt(6) lgkmcnt(1)
	v_mul_f32_e32 v44, v41, v88
	v_fma_f32 v73, v40, v87, -v44
	ds_read2_b64 v[44:47], v78 offset0:86 offset1:207
	v_mul_f32_e32 v74, v40, v88
	v_fmac_f32_e32 v74, v41, v87
	s_waitcnt vmcnt(5)
	v_mul_f32_e32 v40, v43, v90
	v_mul_f32_e32 v41, v42, v90
	v_fma_f32 v40, v42, v89, -v40
	v_fmac_f32_e32 v41, v43, v89
	ds_write2_b64 v79, v[73:74], v[40:41] offset0:100 offset1:221
	;; [unrolled: 12-line block ×3, first 2 shown]
	s_waitcnt vmcnt(2) lgkmcnt(1)
	v_mul_f32_e32 v44, v41, v96
	v_mul_f32_e32 v45, v40, v96
	v_fma_f32 v44, v40, v95, -v44
	v_fmac_f32_e32 v45, v41, v95
	ds_read_b64 v[40:41], v75 offset:9680
	s_waitcnt vmcnt(1)
	v_mul_f32_e32 v46, v43, v98
	v_mul_f32_e32 v47, v42, v98
	v_fma_f32 v46, v42, v97, -v46
	v_fmac_f32_e32 v47, v43, v97
	s_waitcnt vmcnt(0) lgkmcnt(0)
	v_mul_f32_e32 v42, v41, v100
	v_mul_f32_e32 v43, v40, v100
	v_fma_f32 v42, v40, v99, -v42
	v_fmac_f32_e32 v43, v41, v99
	ds_write2_b64 v77, v[44:45], v[46:47] offset0:72 offset1:193
	ds_write_b64 v75, v[42:43] offset:9680
	s_waitcnt lgkmcnt(0)
	s_barrier
	ds_read2_b64 v[83:86], v75 offset1:121
	ds_read2_b64 v[87:90], v80 offset0:114 offset1:235
	ds_read2_b64 v[40:43], v79 offset0:100 offset1:221
	;; [unrolled: 1-line block ×4, first 2 shown]
	ds_read_b64 v[95:96], v75 offset:9680
	s_waitcnt lgkmcnt(5)
	v_add_f32_e32 v73, v83, v85
	s_waitcnt lgkmcnt(4)
	v_add_f32_e32 v73, v73, v87
	v_add_f32_e32 v74, v84, v86
	v_add_f32_e32 v73, v73, v89
	v_add_f32_e32 v74, v74, v88
	s_waitcnt lgkmcnt(3)
	v_add_f32_e32 v73, v73, v40
	v_add_f32_e32 v74, v74, v90
	v_add_f32_e32 v73, v73, v42
	;; [unrolled: 5-line block ×4, first 2 shown]
	s_waitcnt lgkmcnt(0)
	v_add_f32_e32 v98, v96, v86
	v_sub_f32_e32 v86, v86, v96
	v_add_f32_e32 v74, v74, v92
	v_add_f32_e32 v73, v73, v95
	;; [unrolled: 1-line block ×3, first 2 shown]
	v_sub_f32_e32 v85, v85, v95
	v_mul_f32_e32 v95, 0xbf0a6770, v86
	v_mul_f32_e32 v101, 0xbf68dda4, v86
	;; [unrolled: 1-line block ×5, first 2 shown]
	v_add_f32_e32 v74, v74, v94
	v_mov_b32_e32 v113, v86
	v_add_f32_e32 v74, v74, v96
	v_fma_f32 v96, v97, s8, -v95
	v_fmac_f32_e32 v95, 0x3f575c64, v97
	v_mul_f32_e32 v99, 0x3f575c64, v98
	v_fma_f32 v102, v97, s7, -v101
	v_fmac_f32_e32 v101, 0x3ed4b147, v97
	v_mul_f32_e32 v103, 0x3ed4b147, v98
	;; [unrolled: 3-line block ×4, first 2 shown]
	v_fmac_f32_e32 v113, 0xbf75a155, v97
	v_mul_f32_e32 v98, 0xbf75a155, v98
	v_fma_f32 v86, v97, s12, -v86
	v_add_f32_e32 v95, v83, v95
	v_mov_b32_e32 v100, v99
	v_add_f32_e32 v96, v83, v96
	v_add_f32_e32 v101, v83, v101
	v_mov_b32_e32 v104, v103
	v_add_f32_e32 v102, v83, v102
	;; [unrolled: 3-line block ×5, first 2 shown]
	v_add_f32_e32 v86, v94, v88
	v_sub_f32_e32 v88, v88, v94
	v_fmac_f32_e32 v100, 0x3f0a6770, v85
	v_fmac_f32_e32 v99, 0xbf0a6770, v85
	;; [unrolled: 1-line block ×10, first 2 shown]
	v_add_f32_e32 v85, v93, v87
	v_sub_f32_e32 v87, v87, v93
	v_mul_f32_e32 v93, 0xbf68dda4, v88
	v_fma_f32 v94, v85, s7, -v93
	v_fmac_f32_e32 v93, 0x3ed4b147, v85
	v_add_f32_e32 v93, v93, v95
	v_mul_f32_e32 v95, 0x3ed4b147, v86
	v_add_f32_e32 v94, v94, v96
	v_mul_f32_e32 v96, 0xbf4178ce, v88
	v_add_f32_e32 v100, v84, v100
	v_add_f32_e32 v99, v84, v99
	;; [unrolled: 1-line block ×10, first 2 shown]
	v_mov_b32_e32 v97, v95
	v_fmac_f32_e32 v95, 0xbf68dda4, v87
	v_fma_f32 v98, v85, s9, -v96
	v_fmac_f32_e32 v96, 0xbf27a4f4, v85
	v_fmac_f32_e32 v97, 0x3f68dda4, v87
	v_add_f32_e32 v95, v95, v99
	v_add_f32_e32 v96, v96, v101
	v_mul_f32_e32 v99, 0xbf27a4f4, v86
	v_mul_f32_e32 v101, 0x3e903f40, v88
	v_add_f32_e32 v97, v97, v100
	v_mov_b32_e32 v100, v99
	v_add_f32_e32 v98, v98, v102
	v_fmac_f32_e32 v99, 0xbf4178ce, v87
	v_fma_f32 v102, v85, s12, -v101
	v_fmac_f32_e32 v101, 0xbf75a155, v85
	v_fmac_f32_e32 v100, 0x3f4178ce, v87
	v_add_f32_e32 v99, v99, v103
	v_add_f32_e32 v101, v101, v105
	v_mul_f32_e32 v103, 0xbf75a155, v86
	v_mul_f32_e32 v105, 0x3f7d64f0, v88
	v_add_f32_e32 v100, v100, v104
	v_mov_b32_e32 v104, v103
	v_add_f32_e32 v102, v102, v106
	v_fmac_f32_e32 v103, 0x3e903f40, v87
	v_fma_f32 v106, v85, s6, -v105
	v_fmac_f32_e32 v105, 0xbe11bafb, v85
	v_mul_f32_e32 v88, 0x3f0a6770, v88
	v_fmac_f32_e32 v104, 0xbe903f40, v87
	v_add_f32_e32 v103, v103, v107
	v_add_f32_e32 v105, v105, v109
	v_mul_f32_e32 v107, 0xbe11bafb, v86
	v_mov_b32_e32 v109, v88
	v_mul_f32_e32 v86, 0x3f575c64, v86
	v_add_f32_e32 v104, v104, v108
	v_mov_b32_e32 v108, v107
	v_add_f32_e32 v106, v106, v110
	v_fmac_f32_e32 v109, 0x3f575c64, v85
	v_mov_b32_e32 v110, v86
	v_fma_f32 v85, v85, s8, -v88
	v_fmac_f32_e32 v86, 0x3f0a6770, v87
	v_sub_f32_e32 v88, v90, v92
	v_fmac_f32_e32 v108, 0xbf7d64f0, v87
	v_fmac_f32_e32 v107, 0x3f7d64f0, v87
	;; [unrolled: 1-line block ×3, first 2 shown]
	v_add_f32_e32 v83, v85, v83
	v_add_f32_e32 v84, v86, v84
	;; [unrolled: 1-line block ×4, first 2 shown]
	v_sub_f32_e32 v87, v89, v91
	v_mul_f32_e32 v89, 0xbf7d64f0, v88
	v_fma_f32 v90, v85, s6, -v89
	v_fmac_f32_e32 v89, 0xbe11bafb, v85
	v_mul_f32_e32 v91, 0xbe11bafb, v86
	v_add_f32_e32 v89, v89, v93
	v_mov_b32_e32 v92, v91
	v_fmac_f32_e32 v91, 0xbf7d64f0, v87
	v_mul_f32_e32 v93, 0x3e903f40, v88
	v_fmac_f32_e32 v92, 0x3f7d64f0, v87
	v_add_f32_e32 v90, v90, v94
	v_add_f32_e32 v91, v91, v95
	v_fma_f32 v94, v85, s12, -v93
	v_fmac_f32_e32 v93, 0xbf75a155, v85
	v_mul_f32_e32 v95, 0xbf75a155, v86
	v_add_f32_e32 v92, v92, v97
	v_add_f32_e32 v93, v93, v96
	v_mov_b32_e32 v96, v95
	v_fmac_f32_e32 v95, 0x3e903f40, v87
	v_mul_f32_e32 v97, 0x3f68dda4, v88
	v_fmac_f32_e32 v96, 0xbe903f40, v87
	v_add_f32_e32 v94, v94, v98
	v_add_f32_e32 v95, v95, v99
	v_fma_f32 v98, v85, s7, -v97
	v_fmac_f32_e32 v97, 0x3ed4b147, v85
	v_mul_f32_e32 v99, 0x3ed4b147, v86
	v_add_f32_e32 v96, v96, v100
	v_add_f32_e32 v97, v97, v101
	v_mov_b32_e32 v100, v99
	v_fmac_f32_e32 v99, 0x3f68dda4, v87
	v_mul_f32_e32 v101, 0xbf0a6770, v88
	v_add_f32_e32 v98, v98, v102
	v_add_f32_e32 v99, v99, v103
	v_fma_f32 v102, v85, s8, -v101
	v_fmac_f32_e32 v101, 0x3f575c64, v85
	v_mul_f32_e32 v103, 0x3f575c64, v86
	v_mul_f32_e32 v88, 0xbf4178ce, v88
	;; [unrolled: 1-line block ×3, first 2 shown]
	v_add_f32_e32 v101, v101, v105
	v_add_f32_e32 v102, v102, v106
	v_mov_b32_e32 v105, v88
	v_mov_b32_e32 v106, v86
	v_fmac_f32_e32 v86, 0xbf4178ce, v87
	v_fmac_f32_e32 v105, 0xbf27a4f4, v85
	v_fma_f32 v85, v85, s9, -v88
	v_add_f32_e32 v84, v86, v84
	v_add_f32_e32 v86, v47, v41
	v_sub_f32_e32 v41, v41, v47
	v_fmac_f32_e32 v100, 0xbf68dda4, v87
	v_add_f32_e32 v83, v85, v83
	v_add_f32_e32 v85, v46, v40
	v_sub_f32_e32 v40, v40, v46
	v_mul_f32_e32 v46, 0xbf4178ce, v41
	v_add_f32_e32 v100, v100, v104
	v_mov_b32_e32 v104, v103
	v_fma_f32 v47, v85, s9, -v46
	v_fmac_f32_e32 v46, 0xbf27a4f4, v85
	v_fmac_f32_e32 v104, 0x3f0a6770, v87
	;; [unrolled: 1-line block ×4, first 2 shown]
	v_add_f32_e32 v46, v46, v89
	v_mul_f32_e32 v87, 0xbf27a4f4, v86
	v_add_f32_e32 v89, v47, v90
	v_mul_f32_e32 v47, 0x3f7d64f0, v41
	v_mov_b32_e32 v88, v87
	v_fmac_f32_e32 v87, 0xbf4178ce, v40
	v_fma_f32 v90, v85, s6, -v47
	v_fmac_f32_e32 v47, 0xbe11bafb, v85
	v_fmac_f32_e32 v88, 0x3f4178ce, v40
	v_add_f32_e32 v87, v87, v91
	v_add_f32_e32 v91, v47, v93
	v_mul_f32_e32 v47, 0xbe11bafb, v86
	v_add_f32_e32 v88, v88, v92
	v_mov_b32_e32 v92, v47
	v_fmac_f32_e32 v47, 0x3f7d64f0, v40
	v_add_f32_e32 v93, v47, v95
	v_mul_f32_e32 v47, 0xbf0a6770, v41
	v_add_f32_e32 v90, v90, v94
	v_fma_f32 v94, v85, s8, -v47
	v_fmac_f32_e32 v47, 0x3f575c64, v85
	v_fmac_f32_e32 v92, 0xbf7d64f0, v40
	v_add_f32_e32 v95, v47, v97
	v_mul_f32_e32 v47, 0x3f575c64, v86
	v_add_f32_e32 v92, v92, v96
	v_mov_b32_e32 v96, v47
	v_fmac_f32_e32 v47, 0xbf0a6770, v40
	v_add_f32_e32 v97, v47, v99
	v_mul_f32_e32 v47, 0xbe903f40, v41
	v_add_f32_e32 v94, v94, v98
	v_fma_f32 v98, v85, s12, -v47
	v_fmac_f32_e32 v47, 0xbf75a155, v85
	v_add_f32_e32 v107, v107, v111
	v_fmac_f32_e32 v96, 0x3f0a6770, v40
	v_add_f32_e32 v99, v47, v101
	v_mul_f32_e32 v47, 0xbf75a155, v86
	v_add_f32_e32 v103, v103, v107
	v_add_f32_e32 v96, v96, v100
	v_mov_b32_e32 v100, v47
	v_fmac_f32_e32 v47, 0xbe903f40, v40
	v_mul_f32_e32 v41, 0x3f68dda4, v41
	v_add_f32_e32 v109, v109, v113
	v_add_f32_e32 v101, v47, v103
	v_mov_b32_e32 v47, v41
	v_add_f32_e32 v105, v105, v109
	v_fmac_f32_e32 v47, 0x3ed4b147, v85
	v_add_f32_e32 v98, v98, v102
	v_add_f32_e32 v102, v47, v105
	v_mul_f32_e32 v47, 0x3ed4b147, v86
	v_add_f32_e32 v110, v110, v114
	v_mov_b32_e32 v86, v47
	v_add_f32_e32 v108, v108, v112
	v_add_f32_e32 v106, v106, v110
	v_fmac_f32_e32 v86, 0xbf68dda4, v40
	v_sub_f32_e32 v109, v43, v45
	v_add_f32_e32 v104, v104, v108
	v_fmac_f32_e32 v100, 0x3e903f40, v40
	v_add_f32_e32 v103, v86, v106
	v_fma_f32 v41, v85, s7, -v41
	v_fmac_f32_e32 v47, 0x3f68dda4, v40
	v_add_f32_e32 v106, v44, v42
	v_add_f32_e32 v107, v45, v43
	v_mul_f32_e32 v40, 0xbe903f40, v109
	v_add_f32_e32 v100, v100, v104
	v_add_f32_e32 v104, v41, v83
	v_sub_f32_e32 v108, v42, v44
	v_fma_f32 v41, v106, s12, -v40
	v_fmac_f32_e32 v40, 0xbf75a155, v106
	v_mul_f32_e32 v42, 0xbf75a155, v107
	v_add_f32_e32 v46, v40, v46
	v_mov_b32_e32 v40, v42
	v_fmac_f32_e32 v40, 0x3e903f40, v108
	v_fmac_f32_e32 v42, 0xbe903f40, v108
	v_add_f32_e32 v105, v47, v84
	v_add_f32_e32 v47, v40, v88
	;; [unrolled: 1-line block ×4, first 2 shown]
	v_mul_f32_e32 v42, 0x3f0a6770, v109
	v_fma_f32 v43, v106, s8, -v42
	v_fmac_f32_e32 v42, 0x3f575c64, v106
	v_mul_f32_e32 v44, 0x3f575c64, v107
	v_add_f32_e32 v83, v42, v91
	v_mov_b32_e32 v42, v44
	v_fmac_f32_e32 v42, 0xbf0a6770, v108
	v_fmac_f32_e32 v44, 0x3f0a6770, v108
	v_add_f32_e32 v84, v42, v92
	v_add_f32_e32 v42, v43, v90
	;; [unrolled: 1-line block ×3, first 2 shown]
	v_mul_f32_e32 v44, 0xbf4178ce, v109
	v_fma_f32 v45, v106, s9, -v44
	v_fmac_f32_e32 v44, 0xbf27a4f4, v106
	v_mul_f32_e32 v87, 0xbf27a4f4, v107
	v_add_f32_e32 v85, v44, v95
	v_mov_b32_e32 v44, v87
	v_fmac_f32_e32 v44, 0x3f4178ce, v108
	v_add_f32_e32 v86, v44, v96
	v_add_f32_e32 v44, v45, v94
	v_fmac_f32_e32 v87, 0xbf4178ce, v108
	v_mul_f32_e32 v90, 0x3ed4b147, v107
	v_mul_f32_e32 v93, 0xbf7d64f0, v109
	;; [unrolled: 1-line block ×3, first 2 shown]
	v_add_f32_e32 v45, v87, v97
	v_mul_f32_e32 v87, 0x3f68dda4, v109
	v_mov_b32_e32 v88, v90
	v_mov_b32_e32 v91, v93
	;; [unrolled: 1-line block ×3, first 2 shown]
	v_fma_f32 v89, v106, s7, -v87
	v_fmac_f32_e32 v87, 0x3ed4b147, v106
	v_fmac_f32_e32 v88, 0xbf68dda4, v108
	;; [unrolled: 1-line block ×5, first 2 shown]
	v_fma_f32 v93, v106, s6, -v93
	v_fmac_f32_e32 v94, 0xbf7d64f0, v108
	v_add_f32_e32 v87, v87, v99
	v_add_f32_e32 v88, v88, v100
	;; [unrolled: 1-line block ×8, first 2 shown]
	s_barrier
	ds_write2_b64 v82, v[73:74], v[46:47] offset1:1
	ds_write2_b64 v82, v[83:84], v[85:86] offset0:2 offset1:3
	ds_write2_b64 v82, v[87:88], v[91:92] offset0:4 offset1:5
	;; [unrolled: 1-line block ×4, first 2 shown]
	ds_write_b64 v82, v[40:41] offset:80
	s_waitcnt lgkmcnt(0)
	s_barrier
	ds_read2_b64 v[40:43], v75 offset1:121
	ds_read2_b64 v[44:47], v80 offset0:114 offset1:235
	ds_read2_b64 v[82:85], v79 offset0:100 offset1:221
	;; [unrolled: 1-line block ×4, first 2 shown]
	ds_read_b64 v[73:74], v75 offset:9680
	s_waitcnt lgkmcnt(5)
	v_mul_f32_e32 v94, v17, v43
	v_mul_f32_e32 v17, v17, v42
	v_fmac_f32_e32 v94, v16, v42
	v_fma_f32 v42, v16, v43, -v17
	s_waitcnt lgkmcnt(4)
	v_mul_f32_e32 v16, v19, v44
	v_mul_f32_e32 v43, v19, v45
	v_fma_f32 v19, v18, v45, -v16
	v_mul_f32_e32 v16, v13, v47
	v_mul_f32_e32 v13, v13, v46
	v_fmac_f32_e32 v16, v12, v46
	v_fma_f32 v17, v12, v47, -v13
	s_waitcnt lgkmcnt(3)
	v_mul_f32_e32 v13, v15, v83
	v_mul_f32_e32 v12, v15, v82
	v_fmac_f32_e32 v13, v14, v82
	v_fma_f32 v14, v14, v83, -v12
	v_mul_f32_e32 v12, v5, v85
	v_mul_f32_e32 v5, v5, v84
	v_fmac_f32_e32 v12, v4, v84
	v_fma_f32 v4, v4, v85, -v5
	s_waitcnt lgkmcnt(2)
	v_mul_f32_e32 v5, v7, v87
	v_mul_f32_e32 v7, v7, v86
	v_fmac_f32_e32 v5, v6, v86
	v_fma_f32 v6, v6, v87, -v7
	v_mul_f32_e32 v7, v1, v89
	v_mul_f32_e32 v1, v1, v88
	v_fma_f32 v15, v0, v89, -v1
	v_add_f32_e32 v1, v41, v42
	v_fmac_f32_e32 v43, v18, v44
	v_fmac_f32_e32 v7, v0, v88
	s_waitcnt lgkmcnt(1)
	v_mul_f32_e32 v18, v3, v91
	v_mul_f32_e32 v0, v3, v90
	v_add_f32_e32 v1, v1, v19
	v_fmac_f32_e32 v18, v2, v90
	v_fma_f32 v2, v2, v91, -v0
	v_mul_f32_e32 v3, v9, v93
	v_mul_f32_e32 v0, v9, v92
	v_add_f32_e32 v1, v1, v17
	v_fmac_f32_e32 v3, v8, v92
	v_fma_f32 v8, v8, v93, -v0
	s_waitcnt lgkmcnt(0)
	v_mul_f32_e32 v9, v11, v74
	v_mul_f32_e32 v0, v11, v73
	v_add_f32_e32 v1, v1, v14
	v_fmac_f32_e32 v9, v10, v73
	v_fma_f32 v10, v10, v74, -v0
	v_add_f32_e32 v0, v40, v94
	v_add_f32_e32 v1, v1, v4
	;; [unrolled: 1-line block ×13, first 2 shown]
	v_sub_f32_e32 v10, v42, v10
	v_add_f32_e32 v0, v0, v7
	v_mul_f32_e32 v42, 0xbf0a6770, v10
	v_mul_f32_e32 v73, 0xbf68dda4, v10
	;; [unrolled: 1-line block ×5, first 2 shown]
	v_add_f32_e32 v0, v0, v18
	v_add_f32_e32 v11, v94, v9
	v_mov_b32_e32 v92, v10
	v_add_f32_e32 v0, v0, v3
	v_fma_f32 v45, v11, s8, -v42
	v_fmac_f32_e32 v42, 0x3f575c64, v11
	v_mul_f32_e32 v46, 0x3f575c64, v44
	v_fma_f32 v74, v11, s7, -v73
	v_fmac_f32_e32 v73, 0x3ed4b147, v11
	v_mul_f32_e32 v82, 0x3ed4b147, v44
	;; [unrolled: 3-line block ×4, first 2 shown]
	v_fmac_f32_e32 v92, 0xbf75a155, v11
	v_mul_f32_e32 v44, 0xbf75a155, v44
	v_fma_f32 v10, v11, s12, -v10
	v_add_f32_e32 v0, v0, v9
	v_sub_f32_e32 v9, v94, v9
	v_add_f32_e32 v42, v40, v42
	v_mov_b32_e32 v47, v46
	v_add_f32_e32 v45, v40, v45
	v_add_f32_e32 v73, v40, v73
	v_mov_b32_e32 v83, v82
	v_add_f32_e32 v74, v40, v74
	;; [unrolled: 3-line block ×5, first 2 shown]
	v_add_f32_e32 v40, v19, v8
	v_sub_f32_e32 v8, v19, v8
	v_fmac_f32_e32 v47, 0x3f0a6770, v9
	v_fmac_f32_e32 v46, 0xbf0a6770, v9
	;; [unrolled: 1-line block ×10, first 2 shown]
	v_add_f32_e32 v11, v43, v3
	v_mul_f32_e32 v19, 0xbf68dda4, v8
	v_add_f32_e32 v47, v41, v47
	v_add_f32_e32 v46, v41, v46
	;; [unrolled: 1-line block ×10, first 2 shown]
	v_fma_f32 v41, v11, s7, -v19
	v_fmac_f32_e32 v19, 0x3ed4b147, v11
	v_sub_f32_e32 v3, v43, v3
	v_add_f32_e32 v19, v19, v42
	v_mul_f32_e32 v42, 0x3ed4b147, v40
	v_mul_f32_e32 v44, 0xbf4178ce, v8
	v_mov_b32_e32 v43, v42
	v_add_f32_e32 v41, v41, v45
	v_fmac_f32_e32 v42, 0xbf68dda4, v3
	v_fma_f32 v45, v11, s9, -v44
	v_fmac_f32_e32 v44, 0xbf27a4f4, v11
	v_fmac_f32_e32 v43, 0x3f68dda4, v3
	v_add_f32_e32 v42, v42, v46
	v_add_f32_e32 v44, v44, v73
	v_mul_f32_e32 v46, 0xbf27a4f4, v40
	v_mul_f32_e32 v73, 0x3e903f40, v8
	v_add_f32_e32 v43, v43, v47
	v_mov_b32_e32 v47, v46
	v_add_f32_e32 v45, v45, v74
	v_fmac_f32_e32 v46, 0xbf4178ce, v3
	v_fma_f32 v74, v11, s12, -v73
	v_fmac_f32_e32 v73, 0xbf75a155, v11
	v_fmac_f32_e32 v47, 0x3f4178ce, v3
	v_add_f32_e32 v46, v46, v82
	v_add_f32_e32 v73, v73, v84
	v_mul_f32_e32 v82, 0xbf75a155, v40
	v_mul_f32_e32 v84, 0x3f7d64f0, v8
	v_add_f32_e32 v47, v47, v83
	v_mov_b32_e32 v83, v82
	v_add_f32_e32 v74, v74, v85
	v_fmac_f32_e32 v82, 0x3e903f40, v3
	v_fma_f32 v85, v11, s6, -v84
	v_fmac_f32_e32 v84, 0xbe11bafb, v11
	v_mul_f32_e32 v8, 0x3f0a6770, v8
	v_fmac_f32_e32 v83, 0xbe903f40, v3
	v_add_f32_e32 v82, v82, v86
	v_add_f32_e32 v84, v84, v88
	v_mul_f32_e32 v86, 0xbe11bafb, v40
	v_mov_b32_e32 v88, v8
	v_mul_f32_e32 v40, 0x3f575c64, v40
	v_fma_f32 v8, v11, s8, -v8
	v_add_f32_e32 v83, v83, v87
	v_mov_b32_e32 v87, v86
	v_add_f32_e32 v85, v85, v89
	v_mov_b32_e32 v89, v40
	v_add_f32_e32 v8, v8, v10
	v_fmac_f32_e32 v40, 0x3f0a6770, v3
	v_add_f32_e32 v10, v17, v2
	v_sub_f32_e32 v2, v17, v2
	v_fmac_f32_e32 v87, 0xbf7d64f0, v3
	v_fmac_f32_e32 v86, 0x3f7d64f0, v3
	;; [unrolled: 1-line block ×4, first 2 shown]
	v_add_f32_e32 v3, v40, v9
	v_add_f32_e32 v9, v16, v18
	v_sub_f32_e32 v11, v16, v18
	v_mul_f32_e32 v16, 0xbf7d64f0, v2
	v_fma_f32 v17, v9, s6, -v16
	v_fmac_f32_e32 v16, 0xbe11bafb, v9
	v_mul_f32_e32 v18, 0xbe11bafb, v10
	v_add_f32_e32 v16, v16, v19
	v_mov_b32_e32 v19, v18
	v_fmac_f32_e32 v18, 0xbf7d64f0, v11
	v_mul_f32_e32 v40, 0x3e903f40, v2
	v_fmac_f32_e32 v19, 0x3f7d64f0, v11
	v_add_f32_e32 v17, v17, v41
	v_add_f32_e32 v18, v18, v42
	v_fma_f32 v41, v9, s12, -v40
	v_fmac_f32_e32 v40, 0xbf75a155, v9
	v_mul_f32_e32 v42, 0xbf75a155, v10
	v_add_f32_e32 v19, v19, v43
	v_add_f32_e32 v40, v40, v44
	v_mov_b32_e32 v43, v42
	v_fmac_f32_e32 v42, 0x3e903f40, v11
	v_mul_f32_e32 v44, 0x3f68dda4, v2
	v_fmac_f32_e32 v43, 0xbe903f40, v11
	v_add_f32_e32 v41, v41, v45
	v_add_f32_e32 v42, v42, v46
	v_fma_f32 v45, v9, s7, -v44
	v_fmac_f32_e32 v44, 0x3ed4b147, v9
	v_mul_f32_e32 v46, 0x3ed4b147, v10
	v_add_f32_e32 v43, v43, v47
	v_add_f32_e32 v44, v44, v73
	v_mov_b32_e32 v47, v46
	v_fmac_f32_e32 v46, 0x3f68dda4, v11
	v_mul_f32_e32 v73, 0xbf0a6770, v2
	v_add_f32_e32 v45, v45, v74
	v_add_f32_e32 v46, v46, v82
	v_fma_f32 v74, v9, s8, -v73
	v_mul_f32_e32 v82, 0x3f575c64, v10
	v_mul_f32_e32 v10, 0xbf27a4f4, v10
	v_fmac_f32_e32 v47, 0xbf68dda4, v11
	v_fmac_f32_e32 v73, 0x3f575c64, v9
	v_add_f32_e32 v74, v74, v85
	v_mul_f32_e32 v2, 0xbf4178ce, v2
	v_mov_b32_e32 v85, v10
	v_fmac_f32_e32 v10, 0xbf4178ce, v11
	v_add_f32_e32 v47, v47, v83
	v_add_f32_e32 v73, v73, v84
	v_mov_b32_e32 v83, v82
	v_mov_b32_e32 v84, v2
	v_fma_f32 v2, v9, s9, -v2
	v_add_f32_e32 v3, v10, v3
	v_sub_f32_e32 v10, v14, v15
	v_fmac_f32_e32 v83, 0x3f0a6770, v11
	v_fmac_f32_e32 v82, 0xbf0a6770, v11
	;; [unrolled: 1-line block ×4, first 2 shown]
	v_add_f32_e32 v2, v2, v8
	v_add_f32_e32 v8, v13, v7
	;; [unrolled: 1-line block ×3, first 2 shown]
	v_mul_f32_e32 v11, 0xbf4178ce, v10
	v_sub_f32_e32 v7, v13, v7
	v_fma_f32 v13, v8, s9, -v11
	v_fmac_f32_e32 v11, 0xbf27a4f4, v8
	v_mul_f32_e32 v14, 0xbf27a4f4, v9
	v_add_f32_e32 v11, v11, v16
	v_mov_b32_e32 v15, v14
	v_fmac_f32_e32 v14, 0xbf4178ce, v7
	v_mul_f32_e32 v16, 0x3f7d64f0, v10
	v_fmac_f32_e32 v15, 0x3f4178ce, v7
	v_add_f32_e32 v13, v13, v17
	v_add_f32_e32 v14, v14, v18
	v_fma_f32 v17, v8, s6, -v16
	v_fmac_f32_e32 v16, 0xbe11bafb, v8
	v_mul_f32_e32 v18, 0xbe11bafb, v9
	v_add_f32_e32 v15, v15, v19
	v_add_f32_e32 v16, v16, v40
	v_mov_b32_e32 v19, v18
	v_fmac_f32_e32 v18, 0x3f7d64f0, v7
	v_mul_f32_e32 v40, 0xbf0a6770, v10
	v_fmac_f32_e32 v19, 0xbf7d64f0, v7
	v_add_f32_e32 v17, v17, v41
	v_add_f32_e32 v18, v18, v42
	v_fma_f32 v41, v8, s8, -v40
	v_fmac_f32_e32 v40, 0x3f575c64, v8
	v_mul_f32_e32 v42, 0x3f575c64, v9
	v_add_f32_e32 v19, v19, v43
	v_add_f32_e32 v40, v40, v44
	v_mov_b32_e32 v43, v42
	v_fmac_f32_e32 v42, 0xbf0a6770, v7
	v_mul_f32_e32 v44, 0xbe903f40, v10
	v_add_f32_e32 v41, v41, v45
	v_add_f32_e32 v42, v42, v46
	v_fma_f32 v45, v8, s12, -v44
	v_mul_f32_e32 v46, 0xbf75a155, v9
	v_mul_f32_e32 v9, 0x3ed4b147, v9
	v_add_f32_e32 v89, v89, v93
	v_fmac_f32_e32 v43, 0x3f0a6770, v7
	v_fmac_f32_e32 v44, 0xbf75a155, v8
	v_add_f32_e32 v45, v45, v74
	v_mul_f32_e32 v10, 0x3f68dda4, v10
	v_mov_b32_e32 v74, v9
	v_add_f32_e32 v87, v87, v91
	v_add_f32_e32 v86, v86, v90
	;; [unrolled: 1-line block ×6, first 2 shown]
	v_mov_b32_e32 v47, v46
	v_mov_b32_e32 v73, v10
	v_fmac_f32_e32 v74, 0xbf68dda4, v7
	v_add_f32_e32 v83, v83, v87
	v_add_f32_e32 v82, v82, v86
	;; [unrolled: 1-line block ×3, first 2 shown]
	v_fmac_f32_e32 v47, 0x3e903f40, v7
	v_fmac_f32_e32 v46, 0xbe903f40, v7
	;; [unrolled: 1-line block ×3, first 2 shown]
	v_add_f32_e32 v74, v74, v85
	v_fma_f32 v8, v8, s7, -v10
	v_fmac_f32_e32 v9, 0x3f68dda4, v7
	v_add_f32_e32 v85, v4, v6
	v_sub_f32_e32 v87, v4, v6
	v_add_f32_e32 v47, v47, v83
	v_add_f32_e32 v46, v46, v82
	;; [unrolled: 1-line block ×6, first 2 shown]
	v_sub_f32_e32 v86, v12, v5
	v_mul_f32_e32 v2, 0xbe903f40, v87
	v_mul_f32_e32 v5, 0xbf75a155, v85
	;; [unrolled: 1-line block ×5, first 2 shown]
	v_fma_f32 v4, v84, s12, -v2
	v_mov_b32_e32 v3, v5
	v_fma_f32 v8, v84, s8, -v6
	v_mov_b32_e32 v7, v9
	v_fma_f32 v12, v84, s9, -v10
	v_fmac_f32_e32 v10, 0xbf27a4f4, v84
	v_fmac_f32_e32 v2, 0xbf75a155, v84
	;; [unrolled: 1-line block ×3, first 2 shown]
	v_add_f32_e32 v4, v4, v13
	v_fmac_f32_e32 v5, 0xbe903f40, v86
	v_fmac_f32_e32 v7, 0xbf0a6770, v86
	v_add_f32_e32 v8, v8, v17
	v_fmac_f32_e32 v9, 0x3f0a6770, v86
	v_add_f32_e32 v10, v10, v40
	v_mul_f32_e32 v13, 0xbf27a4f4, v85
	v_add_f32_e32 v12, v12, v41
	v_mul_f32_e32 v17, 0x3ed4b147, v85
	v_mul_f32_e32 v40, 0xbf7d64f0, v87
	;; [unrolled: 1-line block ×3, first 2 shown]
	v_add_f32_e32 v2, v2, v11
	v_add_f32_e32 v3, v3, v15
	v_add_f32_e32 v5, v5, v14
	v_fmac_f32_e32 v6, 0x3f575c64, v84
	v_add_f32_e32 v7, v7, v19
	v_add_f32_e32 v9, v9, v18
	v_mov_b32_e32 v11, v13
	v_mul_f32_e32 v14, 0x3f68dda4, v87
	v_mov_b32_e32 v15, v17
	v_mov_b32_e32 v18, v40
	v_mov_b32_e32 v19, v41
	v_add_f32_e32 v6, v6, v16
	v_fmac_f32_e32 v11, 0x3f4178ce, v86
	v_fmac_f32_e32 v13, 0xbf4178ce, v86
	v_fma_f32 v16, v84, s7, -v14
	v_fmac_f32_e32 v14, 0x3ed4b147, v84
	v_fmac_f32_e32 v15, 0xbf68dda4, v86
	;; [unrolled: 1-line block ×5, first 2 shown]
	v_fma_f32 v40, v84, s6, -v40
	v_fmac_f32_e32 v41, 0xbf7d64f0, v86
	v_add_f32_e32 v11, v11, v43
	v_add_f32_e32 v13, v13, v42
	;; [unrolled: 1-line block ×10, first 2 shown]
	s_barrier
	ds_write2_b64 v81, v[0:1], v[2:3] offset1:11
	ds_write2_b64 v81, v[6:7], v[10:11] offset0:22 offset1:33
	ds_write2_b64 v81, v[14:15], v[18:19] offset0:44 offset1:55
	;; [unrolled: 1-line block ×4, first 2 shown]
	ds_write_b64 v81, v[4:5] offset:880
	s_waitcnt lgkmcnt(0)
	s_barrier
	ds_read2_b64 v[0:3], v75 offset1:121
	ds_read2_b64 v[4:7], v80 offset0:114 offset1:235
	ds_read2_b64 v[8:11], v79 offset0:100 offset1:221
	;; [unrolled: 1-line block ×4, first 2 shown]
	ds_read_b64 v[40:41], v75 offset:9680
	s_waitcnt lgkmcnt(5)
	v_mul_f32_e32 v42, v33, v3
	v_fmac_f32_e32 v42, v32, v2
	v_mul_f32_e32 v2, v33, v2
	v_fma_f32 v32, v32, v3, -v2
	s_waitcnt lgkmcnt(4)
	v_mul_f32_e32 v33, v35, v5
	v_mul_f32_e32 v2, v35, v4
	v_fmac_f32_e32 v33, v34, v4
	v_fma_f32 v4, v34, v5, -v2
	v_mul_f32_e32 v5, v29, v7
	v_mul_f32_e32 v2, v29, v6
	v_fmac_f32_e32 v5, v28, v6
	v_fma_f32 v6, v28, v7, -v2
	s_waitcnt lgkmcnt(3)
	v_mul_f32_e32 v7, v31, v9
	v_mul_f32_e32 v2, v31, v8
	v_fmac_f32_e32 v7, v30, v8
	v_fma_f32 v8, v30, v9, -v2
	v_mul_f32_e32 v9, v25, v11
	v_mul_f32_e32 v2, v25, v10
	v_fmac_f32_e32 v9, v24, v10
	v_fma_f32 v10, v24, v11, -v2
	s_waitcnt lgkmcnt(2)
	v_mul_f32_e32 v11, v27, v13
	v_mul_f32_e32 v2, v27, v12
	v_fmac_f32_e32 v11, v26, v12
	v_fma_f32 v12, v26, v13, -v2
	v_mul_f32_e32 v13, v21, v15
	v_mul_f32_e32 v2, v21, v14
	v_add_f32_e32 v3, v1, v32
	v_fmac_f32_e32 v13, v20, v14
	v_fma_f32 v14, v20, v15, -v2
	s_waitcnt lgkmcnt(1)
	v_mul_f32_e32 v15, v23, v17
	v_mul_f32_e32 v2, v23, v16
	v_add_f32_e32 v3, v3, v4
	v_fmac_f32_e32 v15, v22, v16
	v_fma_f32 v16, v22, v17, -v2
	v_mul_f32_e32 v17, v37, v19
	v_mul_f32_e32 v2, v37, v18
	v_add_f32_e32 v3, v3, v6
	v_fmac_f32_e32 v17, v36, v18
	v_fma_f32 v18, v36, v19, -v2
	s_waitcnt lgkmcnt(0)
	v_mul_f32_e32 v2, v39, v40
	v_add_f32_e32 v3, v3, v8
	v_fma_f32 v20, v38, v41, -v2
	v_add_f32_e32 v2, v0, v42
	v_add_f32_e32 v3, v3, v10
	;; [unrolled: 1-line block ×10, first 2 shown]
	v_mul_f32_e32 v19, v39, v41
	v_add_f32_e32 v2, v2, v11
	v_add_f32_e32 v3, v3, v20
	;; [unrolled: 1-line block ×3, first 2 shown]
	v_sub_f32_e32 v20, v32, v20
	v_fmac_f32_e32 v19, v38, v40
	v_add_f32_e32 v2, v2, v13
	v_mul_f32_e32 v23, 0xbf0a6770, v20
	v_mul_f32_e32 v27, 0xbf68dda4, v20
	;; [unrolled: 1-line block ×5, first 2 shown]
	v_add_f32_e32 v2, v2, v15
	v_add_f32_e32 v21, v42, v19
	v_mov_b32_e32 v40, v20
	v_add_f32_e32 v2, v2, v17
	v_fma_f32 v24, v21, s8, -v23
	v_fmac_f32_e32 v23, 0x3f575c64, v21
	v_mul_f32_e32 v25, 0x3f575c64, v22
	v_fma_f32 v28, v21, s7, -v27
	v_fmac_f32_e32 v27, 0x3ed4b147, v21
	v_mul_f32_e32 v29, 0x3ed4b147, v22
	v_fma_f32 v32, v21, s6, -v31
	v_fmac_f32_e32 v31, 0xbe11bafb, v21
	v_mul_f32_e32 v34, 0xbe11bafb, v22
	v_fma_f32 v37, v21, s9, -v36
	v_fmac_f32_e32 v36, 0xbf27a4f4, v21
	v_mul_f32_e32 v38, 0xbf27a4f4, v22
	v_fmac_f32_e32 v40, 0xbf75a155, v21
	v_mul_f32_e32 v22, 0xbf75a155, v22
	v_fma_f32 v20, v21, s12, -v20
	v_add_f32_e32 v2, v2, v19
	v_sub_f32_e32 v19, v42, v19
	v_add_f32_e32 v23, v0, v23
	v_mov_b32_e32 v26, v25
	v_add_f32_e32 v24, v0, v24
	v_add_f32_e32 v27, v0, v27
	v_mov_b32_e32 v30, v29
	v_add_f32_e32 v28, v0, v28
	;; [unrolled: 3-line block ×5, first 2 shown]
	v_add_f32_e32 v20, v4, v18
	v_sub_f32_e32 v4, v4, v18
	v_fmac_f32_e32 v26, 0x3f0a6770, v19
	v_fmac_f32_e32 v25, 0xbf0a6770, v19
	v_fmac_f32_e32 v30, 0x3f68dda4, v19
	v_fmac_f32_e32 v29, 0xbf68dda4, v19
	v_fmac_f32_e32 v35, 0x3f7d64f0, v19
	v_fmac_f32_e32 v34, 0xbf7d64f0, v19
	v_fmac_f32_e32 v39, 0x3f4178ce, v19
	v_fmac_f32_e32 v38, 0xbf4178ce, v19
	v_fmac_f32_e32 v41, 0x3e903f40, v19
	v_fmac_f32_e32 v22, 0xbe903f40, v19
	v_add_f32_e32 v19, v33, v17
	v_mul_f32_e32 v18, 0xbf68dda4, v4
	v_add_f32_e32 v26, v1, v26
	v_add_f32_e32 v25, v1, v25
	;; [unrolled: 1-line block ×10, first 2 shown]
	v_fma_f32 v21, v19, s7, -v18
	v_fmac_f32_e32 v18, 0x3ed4b147, v19
	v_mul_f32_e32 v22, 0x3ed4b147, v20
	v_sub_f32_e32 v17, v33, v17
	v_add_f32_e32 v18, v18, v23
	v_mov_b32_e32 v23, v22
	v_fmac_f32_e32 v23, 0x3f68dda4, v17
	v_add_f32_e32 v21, v21, v24
	v_fmac_f32_e32 v22, 0xbf68dda4, v17
	v_mul_f32_e32 v24, 0xbf4178ce, v4
	v_add_f32_e32 v23, v23, v26
	v_add_f32_e32 v22, v22, v25
	v_fma_f32 v25, v19, s9, -v24
	v_fmac_f32_e32 v24, 0xbf27a4f4, v19
	v_mul_f32_e32 v26, 0xbf27a4f4, v20
	v_add_f32_e32 v24, v24, v27
	v_mov_b32_e32 v27, v26
	v_fmac_f32_e32 v27, 0x3f4178ce, v17
	v_add_f32_e32 v25, v25, v28
	v_fmac_f32_e32 v26, 0xbf4178ce, v17
	v_mul_f32_e32 v28, 0x3e903f40, v4
	v_add_f32_e32 v27, v27, v30
	v_add_f32_e32 v26, v26, v29
	v_fma_f32 v29, v19, s12, -v28
	v_fmac_f32_e32 v28, 0xbf75a155, v19
	v_mul_f32_e32 v30, 0xbf75a155, v20
	v_add_f32_e32 v28, v28, v31
	v_mov_b32_e32 v31, v30
	v_add_f32_e32 v29, v29, v32
	v_fmac_f32_e32 v30, 0x3e903f40, v17
	v_mul_f32_e32 v32, 0x3f7d64f0, v4
	v_fmac_f32_e32 v31, 0xbe903f40, v17
	v_add_f32_e32 v30, v30, v34
	v_fma_f32 v33, v19, s6, -v32
	v_mul_f32_e32 v34, 0xbe11bafb, v20
	v_mul_f32_e32 v20, 0x3f575c64, v20
	v_add_f32_e32 v31, v31, v35
	v_fmac_f32_e32 v32, 0xbe11bafb, v19
	v_mov_b32_e32 v35, v34
	v_add_f32_e32 v33, v33, v37
	v_mul_f32_e32 v4, 0x3f0a6770, v4
	v_mov_b32_e32 v37, v20
	v_add_f32_e32 v32, v32, v36
	v_fmac_f32_e32 v35, 0xbf7d64f0, v17
	v_fmac_f32_e32 v34, 0x3f7d64f0, v17
	v_mov_b32_e32 v36, v4
	v_fmac_f32_e32 v37, 0xbf0a6770, v17
	v_fma_f32 v4, v19, s8, -v4
	v_fmac_f32_e32 v20, 0x3f0a6770, v17
	v_add_f32_e32 v17, v6, v16
	v_sub_f32_e32 v6, v6, v16
	v_add_f32_e32 v0, v4, v0
	v_add_f32_e32 v4, v5, v15
	v_sub_f32_e32 v5, v5, v15
	v_mul_f32_e32 v15, 0xbf7d64f0, v6
	v_add_f32_e32 v1, v20, v1
	v_fma_f32 v16, v4, s6, -v15
	v_fmac_f32_e32 v15, 0xbe11bafb, v4
	v_mul_f32_e32 v20, 0x3e903f40, v6
	v_add_f32_e32 v15, v15, v18
	v_mul_f32_e32 v18, 0xbe11bafb, v17
	v_add_f32_e32 v16, v16, v21
	v_fma_f32 v21, v4, s12, -v20
	v_fmac_f32_e32 v20, 0xbf75a155, v4
	v_fmac_f32_e32 v36, 0x3f575c64, v19
	v_mov_b32_e32 v19, v18
	v_fmac_f32_e32 v18, 0xbf7d64f0, v5
	v_add_f32_e32 v20, v20, v24
	v_mul_f32_e32 v24, 0x3f68dda4, v6
	v_fmac_f32_e32 v19, 0x3f7d64f0, v5
	v_add_f32_e32 v18, v18, v22
	v_mul_f32_e32 v22, 0xbf75a155, v17
	v_add_f32_e32 v21, v21, v25
	v_fma_f32 v25, v4, s7, -v24
	v_fmac_f32_e32 v24, 0x3ed4b147, v4
	v_add_f32_e32 v19, v19, v23
	v_mov_b32_e32 v23, v22
	v_fmac_f32_e32 v22, 0x3e903f40, v5
	v_add_f32_e32 v24, v24, v28
	v_mul_f32_e32 v28, 0xbf0a6770, v6
	v_fmac_f32_e32 v23, 0xbe903f40, v5
	v_add_f32_e32 v22, v22, v26
	v_mul_f32_e32 v26, 0x3ed4b147, v17
	v_add_f32_e32 v25, v25, v29
	v_fma_f32 v29, v4, s8, -v28
	v_fmac_f32_e32 v28, 0x3f575c64, v4
	v_mul_f32_e32 v6, 0xbf4178ce, v6
	v_add_f32_e32 v23, v23, v27
	v_mov_b32_e32 v27, v26
	v_fmac_f32_e32 v26, 0x3f68dda4, v5
	v_add_f32_e32 v28, v28, v32
	v_mov_b32_e32 v32, v6
	v_fmac_f32_e32 v27, 0xbf68dda4, v5
	v_add_f32_e32 v26, v26, v30
	v_mul_f32_e32 v30, 0x3f575c64, v17
	v_fmac_f32_e32 v32, 0xbf27a4f4, v4
	v_mul_f32_e32 v17, 0xbf27a4f4, v17
	v_fma_f32 v4, v4, s9, -v6
	v_add_f32_e32 v27, v27, v31
	v_mov_b32_e32 v31, v30
	v_add_f32_e32 v29, v29, v33
	v_mov_b32_e32 v33, v17
	v_add_f32_e32 v0, v4, v0
	v_add_f32_e32 v4, v7, v13
	v_sub_f32_e32 v6, v7, v13
	v_sub_f32_e32 v7, v8, v14
	v_fmac_f32_e32 v31, 0x3f0a6770, v5
	v_fmac_f32_e32 v30, 0xbf0a6770, v5
	;; [unrolled: 1-line block ×4, first 2 shown]
	v_add_f32_e32 v5, v8, v14
	v_mul_f32_e32 v8, 0xbf4178ce, v7
	v_fma_f32 v13, v4, s9, -v8
	v_fmac_f32_e32 v8, 0xbf27a4f4, v4
	v_mul_f32_e32 v14, 0xbf27a4f4, v5
	v_add_f32_e32 v8, v8, v15
	v_mov_b32_e32 v15, v14
	v_add_f32_e32 v13, v13, v16
	v_fmac_f32_e32 v14, 0xbf4178ce, v6
	v_mul_f32_e32 v16, 0x3f7d64f0, v7
	v_add_f32_e32 v1, v17, v1
	v_fmac_f32_e32 v15, 0x3f4178ce, v6
	v_add_f32_e32 v14, v14, v18
	v_fma_f32 v17, v4, s6, -v16
	v_fmac_f32_e32 v16, 0xbe11bafb, v4
	v_mul_f32_e32 v18, 0xbe11bafb, v5
	v_add_f32_e32 v15, v15, v19
	v_add_f32_e32 v16, v16, v20
	v_mov_b32_e32 v19, v18
	v_fmac_f32_e32 v18, 0x3f7d64f0, v6
	v_mul_f32_e32 v20, 0xbf0a6770, v7
	v_fmac_f32_e32 v19, 0xbf7d64f0, v6
	v_add_f32_e32 v17, v17, v21
	v_add_f32_e32 v18, v18, v22
	v_fma_f32 v21, v4, s8, -v20
	v_fmac_f32_e32 v20, 0x3f575c64, v4
	v_mul_f32_e32 v22, 0x3f575c64, v5
	v_add_f32_e32 v19, v19, v23
	v_add_f32_e32 v20, v20, v24
	v_mov_b32_e32 v23, v22
	v_fmac_f32_e32 v22, 0xbf0a6770, v6
	v_mul_f32_e32 v24, 0xbe903f40, v7
	v_add_f32_e32 v21, v21, v25
	v_add_f32_e32 v22, v22, v26
	v_fma_f32 v25, v4, s12, -v24
	v_fmac_f32_e32 v24, 0xbf75a155, v4
	v_mul_f32_e32 v26, 0xbf75a155, v5
	v_mul_f32_e32 v7, 0x3f68dda4, v7
	;; [unrolled: 1-line block ×3, first 2 shown]
	v_add_f32_e32 v35, v35, v39
	v_add_f32_e32 v34, v34, v38
	;; [unrolled: 1-line block ×4, first 2 shown]
	v_fmac_f32_e32 v23, 0x3f0a6770, v6
	v_add_f32_e32 v24, v24, v28
	v_add_f32_e32 v25, v25, v29
	v_mov_b32_e32 v28, v7
	v_mov_b32_e32 v29, v5
	v_add_f32_e32 v31, v31, v35
	v_add_f32_e32 v30, v30, v34
	;; [unrolled: 1-line block ×5, first 2 shown]
	v_mov_b32_e32 v27, v26
	v_fmac_f32_e32 v26, 0xbe903f40, v6
	v_fmac_f32_e32 v28, 0x3ed4b147, v4
	;; [unrolled: 1-line block ×3, first 2 shown]
	v_fma_f32 v4, v4, s7, -v7
	v_sub_f32_e32 v35, v10, v12
	v_fmac_f32_e32 v27, 0x3e903f40, v6
	v_add_f32_e32 v26, v26, v30
	v_add_f32_e32 v28, v28, v32
	;; [unrolled: 1-line block ×4, first 2 shown]
	v_fmac_f32_e32 v5, 0x3f68dda4, v6
	v_add_f32_e32 v32, v9, v11
	v_add_f32_e32 v33, v10, v12
	v_mul_f32_e32 v0, 0xbe903f40, v35
	v_add_f32_e32 v27, v27, v31
	v_add_f32_e32 v31, v5, v1
	v_sub_f32_e32 v34, v9, v11
	v_fma_f32 v4, v32, s12, -v0
	v_fmac_f32_e32 v0, 0xbf75a155, v32
	v_mul_f32_e32 v5, 0xbf75a155, v33
	v_mul_f32_e32 v6, 0x3f0a6770, v35
	;; [unrolled: 1-line block ×4, first 2 shown]
	v_add_f32_e32 v0, v0, v8
	v_mov_b32_e32 v1, v5
	v_fma_f32 v8, v32, s8, -v6
	v_mov_b32_e32 v7, v9
	v_fma_f32 v12, v32, s9, -v10
	v_fmac_f32_e32 v10, 0xbf27a4f4, v32
	v_fmac_f32_e32 v1, 0x3e903f40, v34
	v_add_f32_e32 v4, v4, v13
	v_fmac_f32_e32 v5, 0xbe903f40, v34
	v_fmac_f32_e32 v7, 0xbf0a6770, v34
	v_add_f32_e32 v8, v8, v17
	v_fmac_f32_e32 v9, 0x3f0a6770, v34
	v_add_f32_e32 v10, v10, v20
	v_mul_f32_e32 v13, 0xbf27a4f4, v33
	v_add_f32_e32 v12, v12, v21
	v_mul_f32_e32 v17, 0x3ed4b147, v33
	v_mul_f32_e32 v20, 0xbf7d64f0, v35
	;; [unrolled: 1-line block ×3, first 2 shown]
	v_add_f32_e32 v1, v1, v15
	v_add_f32_e32 v5, v5, v14
	v_fmac_f32_e32 v6, 0x3f575c64, v32
	v_add_f32_e32 v7, v7, v19
	v_add_f32_e32 v9, v9, v18
	v_mov_b32_e32 v11, v13
	v_mul_f32_e32 v14, 0x3f68dda4, v35
	v_mov_b32_e32 v15, v17
	v_mov_b32_e32 v18, v20
	v_mov_b32_e32 v19, v21
	v_add_f32_e32 v6, v6, v16
	v_fmac_f32_e32 v11, 0x3f4178ce, v34
	v_fmac_f32_e32 v13, 0xbf4178ce, v34
	v_fma_f32 v16, v32, s7, -v14
	v_fmac_f32_e32 v14, 0x3ed4b147, v32
	v_fmac_f32_e32 v15, 0xbf68dda4, v34
	;; [unrolled: 1-line block ×5, first 2 shown]
	v_fma_f32 v20, v32, s6, -v20
	v_fmac_f32_e32 v21, 0xbf7d64f0, v34
	v_add_f32_e32 v11, v11, v23
	v_add_f32_e32 v13, v13, v22
	;; [unrolled: 1-line block ×10, first 2 shown]
	ds_write2_b64 v75, v[2:3], v[0:1] offset1:121
	ds_write2_b64 v80, v[6:7], v[10:11] offset0:114 offset1:235
	ds_write2_b64 v79, v[14:15], v[18:19] offset0:100 offset1:221
	;; [unrolled: 1-line block ×4, first 2 shown]
	ds_write_b64 v75, v[4:5] offset:9680
	s_waitcnt lgkmcnt(0)
	s_barrier
	ds_read2_b64 v[0:3], v75 offset1:121
	s_load_dwordx2 s[6:7], s[4:5], 0x38
	s_mov_b32 s4, 0x3fdb1246
	s_mov_b32 s5, 0x3f489e7c
	v_mad_u64_u32 v[7:8], s[8:9], s0, v76, 0
	s_waitcnt lgkmcnt(0)
	v_mul_f32_e32 v5, v70, v1
	v_fmac_f32_e32 v5, v69, v0
	v_cvt_f64_f32_e32 v[5:6], v5
	v_mul_f32_e32 v0, v70, v0
	v_fma_f32 v0, v69, v1, -v0
	v_cvt_f64_f32_e32 v[0:1], v0
	v_mul_f64 v[5:6], v[5:6], s[4:5]
	v_mov_b32_e32 v4, v72
	v_mul_f64 v[0:1], v[0:1], s[4:5]
	v_mad_u64_u32 v[9:10], s[2:3], s3, v58, v[4:5]
	v_mov_b32_e32 v4, v8
	v_mad_u64_u32 v[10:11], s[2:3], s1, v76, v[4:5]
	v_mov_b32_e32 v72, v9
	v_mul_f32_e32 v9, v68, v3
	v_fmac_f32_e32 v9, v67, v2
	v_mov_b32_e32 v8, v10
	v_cvt_f64_f32_e32 v[9:10], v9
	v_cvt_f32_f64_e32 v4, v[5:6]
	v_cvt_f32_f64_e32 v5, v[0:1]
	v_lshlrev_b64 v[0:1], 3, v[71:72]
	v_mul_f32_e32 v2, v68, v2
	v_fma_f32 v2, v67, v3, -v2
	v_mov_b32_e32 v6, s7
	v_cvt_f64_f32_e32 v[2:3], v2
	v_add_co_u32_e32 v11, vcc, s6, v0
	v_addc_co_u32_e32 v12, vcc, v6, v1, vcc
	v_lshlrev_b64 v[0:1], 3, v[7:8]
	v_mul_f64 v[6:7], v[9:10], s[4:5]
	v_add_co_u32_e32 v10, vcc, v11, v0
	v_mul_f64 v[8:9], v[2:3], s[4:5]
	v_addc_co_u32_e32 v11, vcc, v12, v1, vcc
	ds_read2_b64 v[0:3], v80 offset0:114 offset1:235
	global_store_dwordx2 v[10:11], v[4:5], off
	v_cvt_f32_f64_e32 v4, v[6:7]
	s_mulk_i32 s1, 0x3c8
	s_mul_hi_u32 s2, s0, 0x3c8
	s_waitcnt lgkmcnt(0)
	v_mul_f32_e32 v6, v66, v1
	v_fmac_f32_e32 v6, v65, v0
	v_mul_f32_e32 v0, v66, v0
	v_fma_f32 v0, v65, v1, -v0
	v_cvt_f64_f32_e32 v[0:1], v0
	v_cvt_f64_f32_e32 v[6:7], v6
	v_cvt_f32_f64_e32 v5, v[8:9]
	s_add_i32 s1, s2, s1
	v_mul_f64 v[0:1], v[0:1], s[4:5]
	v_mul_f64 v[6:7], v[6:7], s[4:5]
	s_mulk_i32 s0, 0x3c8
	v_mov_b32_e32 v9, s1
	v_add_co_u32_e32 v8, vcc, s0, v10
	v_addc_co_u32_e32 v9, vcc, v11, v9, vcc
	global_store_dwordx2 v[8:9], v[4:5], off
	v_cvt_f32_f64_e32 v5, v[0:1]
	v_mul_f32_e32 v0, v62, v3
	v_fmac_f32_e32 v0, v61, v2
	v_cvt_f32_f64_e32 v4, v[6:7]
	v_cvt_f64_f32_e32 v[6:7], v0
	v_mul_f32_e32 v0, v62, v2
	v_fma_f32 v0, v61, v3, -v0
	v_cvt_f64_f32_e32 v[10:11], v0
	ds_read2_b64 v[0:3], v79 offset0:100 offset1:221
	v_mov_b32_e32 v12, s1
	v_add_co_u32_e32 v8, vcc, s0, v8
	v_addc_co_u32_e32 v9, vcc, v9, v12, vcc
	global_store_dwordx2 v[8:9], v[4:5], off
	v_mul_f64 v[4:5], v[6:7], s[4:5]
	v_mul_f64 v[6:7], v[10:11], s[4:5]
	s_waitcnt lgkmcnt(0)
	v_mul_f32_e32 v10, v60, v1
	v_fmac_f32_e32 v10, v59, v0
	v_mul_f32_e32 v0, v60, v0
	v_fma_f32 v0, v59, v1, -v0
	v_cvt_f64_f32_e32 v[0:1], v0
	v_cvt_f64_f32_e32 v[10:11], v10
	v_cvt_f32_f64_e32 v4, v[4:5]
	v_cvt_f32_f64_e32 v5, v[6:7]
	v_mul_f64 v[0:1], v[0:1], s[4:5]
	v_mul_f64 v[6:7], v[10:11], s[4:5]
	v_mov_b32_e32 v10, s1
	v_add_co_u32_e32 v8, vcc, s0, v8
	v_addc_co_u32_e32 v9, vcc, v9, v10, vcc
	global_store_dwordx2 v[8:9], v[4:5], off
	v_cvt_f32_f64_e32 v5, v[0:1]
	v_mul_f32_e32 v0, v57, v3
	v_fmac_f32_e32 v0, v56, v2
	v_cvt_f32_f64_e32 v4, v[6:7]
	v_cvt_f64_f32_e32 v[6:7], v0
	v_mul_f32_e32 v0, v57, v2
	v_fma_f32 v0, v56, v3, -v0
	v_cvt_f64_f32_e32 v[10:11], v0
	ds_read2_b64 v[0:3], v78 offset0:86 offset1:207
	v_add_co_u32_e32 v8, vcc, s0, v8
	v_addc_co_u32_e32 v9, vcc, v9, v12, vcc
	global_store_dwordx2 v[8:9], v[4:5], off
	v_mul_f64 v[4:5], v[6:7], s[4:5]
	v_mul_f64 v[6:7], v[10:11], s[4:5]
	s_waitcnt lgkmcnt(0)
	v_mul_f32_e32 v10, v64, v1
	v_fmac_f32_e32 v10, v63, v0
	v_mul_f32_e32 v0, v64, v0
	v_fma_f32 v0, v63, v1, -v0
	v_cvt_f64_f32_e32 v[0:1], v0
	v_cvt_f64_f32_e32 v[10:11], v10
	v_cvt_f32_f64_e32 v4, v[4:5]
	v_cvt_f32_f64_e32 v5, v[6:7]
	v_mul_f64 v[0:1], v[0:1], s[4:5]
	v_mul_f64 v[6:7], v[10:11], s[4:5]
	v_mov_b32_e32 v10, s1
	v_add_co_u32_e32 v8, vcc, s0, v8
	v_addc_co_u32_e32 v9, vcc, v9, v10, vcc
	global_store_dwordx2 v[8:9], v[4:5], off
	v_cvt_f32_f64_e32 v5, v[0:1]
	v_mul_f32_e32 v0, v55, v3
	v_fmac_f32_e32 v0, v54, v2
	v_cvt_f32_f64_e32 v4, v[6:7]
	v_cvt_f64_f32_e32 v[6:7], v0
	v_mul_f32_e32 v0, v55, v2
	v_fma_f32 v0, v54, v3, -v0
	v_cvt_f64_f32_e32 v[10:11], v0
	ds_read2_b64 v[0:3], v77 offset0:72 offset1:193
	v_add_co_u32_e32 v8, vcc, s0, v8
	v_addc_co_u32_e32 v9, vcc, v9, v12, vcc
	global_store_dwordx2 v[8:9], v[4:5], off
	v_mul_f64 v[4:5], v[6:7], s[4:5]
	v_mul_f64 v[6:7], v[10:11], s[4:5]
	s_waitcnt lgkmcnt(0)
	v_mul_f32_e32 v10, v53, v1
	v_fmac_f32_e32 v10, v52, v0
	v_mul_f32_e32 v0, v53, v0
	v_fma_f32 v0, v52, v1, -v0
	v_cvt_f64_f32_e32 v[0:1], v0
	v_cvt_f64_f32_e32 v[10:11], v10
	v_cvt_f32_f64_e32 v4, v[4:5]
	v_cvt_f32_f64_e32 v5, v[6:7]
	v_mul_f64 v[0:1], v[0:1], s[4:5]
	v_mul_f64 v[6:7], v[10:11], s[4:5]
	v_mov_b32_e32 v10, s1
	v_add_co_u32_e32 v8, vcc, s0, v8
	v_addc_co_u32_e32 v9, vcc, v9, v10, vcc
	global_store_dwordx2 v[8:9], v[4:5], off
	v_cvt_f32_f64_e32 v5, v[0:1]
	v_mul_f32_e32 v0, v51, v3
	v_fmac_f32_e32 v0, v50, v2
	v_mul_f32_e32 v2, v51, v2
	v_fma_f32 v2, v50, v3, -v2
	v_cvt_f32_f64_e32 v4, v[6:7]
	v_cvt_f64_f32_e32 v[0:1], v0
	v_cvt_f64_f32_e32 v[2:3], v2
	ds_read_b64 v[6:7], v75 offset:9680
	v_add_co_u32_e32 v8, vcc, s0, v8
	v_addc_co_u32_e32 v9, vcc, v9, v10, vcc
	v_mul_f64 v[0:1], v[0:1], s[4:5]
	v_mul_f64 v[2:3], v[2:3], s[4:5]
	global_store_dwordx2 v[8:9], v[4:5], off
	s_waitcnt lgkmcnt(0)
	v_mul_f32_e32 v4, v49, v7
	v_fmac_f32_e32 v4, v48, v6
	v_mul_f32_e32 v6, v49, v6
	v_fma_f32 v6, v48, v7, -v6
	v_cvt_f64_f32_e32 v[4:5], v4
	v_cvt_f64_f32_e32 v[6:7], v6
	v_cvt_f32_f64_e32 v0, v[0:1]
	v_cvt_f32_f64_e32 v1, v[2:3]
	v_mul_f64 v[2:3], v[4:5], s[4:5]
	v_mul_f64 v[4:5], v[6:7], s[4:5]
	v_mov_b32_e32 v7, s1
	v_add_co_u32_e32 v6, vcc, s0, v8
	v_addc_co_u32_e32 v7, vcc, v9, v7, vcc
	global_store_dwordx2 v[6:7], v[0:1], off
	v_cvt_f32_f64_e32 v0, v[2:3]
	v_cvt_f32_f64_e32 v1, v[4:5]
	v_mov_b32_e32 v3, s1
	v_add_co_u32_e32 v2, vcc, s0, v6
	v_addc_co_u32_e32 v3, vcc, v7, v3, vcc
	global_store_dwordx2 v[2:3], v[0:1], off
.LBB0_2:
	s_endpgm
	.section	.rodata,"a",@progbits
	.p2align	6, 0x0
	.amdhsa_kernel bluestein_single_back_len1331_dim1_sp_op_CI_CI
		.amdhsa_group_segment_fixed_size 21296
		.amdhsa_private_segment_fixed_size 0
		.amdhsa_kernarg_size 104
		.amdhsa_user_sgpr_count 6
		.amdhsa_user_sgpr_private_segment_buffer 1
		.amdhsa_user_sgpr_dispatch_ptr 0
		.amdhsa_user_sgpr_queue_ptr 0
		.amdhsa_user_sgpr_kernarg_segment_ptr 1
		.amdhsa_user_sgpr_dispatch_id 0
		.amdhsa_user_sgpr_flat_scratch_init 0
		.amdhsa_user_sgpr_private_segment_size 0
		.amdhsa_uses_dynamic_stack 0
		.amdhsa_system_sgpr_private_segment_wavefront_offset 0
		.amdhsa_system_sgpr_workgroup_id_x 1
		.amdhsa_system_sgpr_workgroup_id_y 0
		.amdhsa_system_sgpr_workgroup_id_z 0
		.amdhsa_system_sgpr_workgroup_info 0
		.amdhsa_system_vgpr_workitem_id 0
		.amdhsa_next_free_vgpr 117
		.amdhsa_next_free_sgpr 20
		.amdhsa_reserve_vcc 1
		.amdhsa_reserve_flat_scratch 0
		.amdhsa_float_round_mode_32 0
		.amdhsa_float_round_mode_16_64 0
		.amdhsa_float_denorm_mode_32 3
		.amdhsa_float_denorm_mode_16_64 3
		.amdhsa_dx10_clamp 1
		.amdhsa_ieee_mode 1
		.amdhsa_fp16_overflow 0
		.amdhsa_exception_fp_ieee_invalid_op 0
		.amdhsa_exception_fp_denorm_src 0
		.amdhsa_exception_fp_ieee_div_zero 0
		.amdhsa_exception_fp_ieee_overflow 0
		.amdhsa_exception_fp_ieee_underflow 0
		.amdhsa_exception_fp_ieee_inexact 0
		.amdhsa_exception_int_div_zero 0
	.end_amdhsa_kernel
	.text
.Lfunc_end0:
	.size	bluestein_single_back_len1331_dim1_sp_op_CI_CI, .Lfunc_end0-bluestein_single_back_len1331_dim1_sp_op_CI_CI
                                        ; -- End function
	.section	.AMDGPU.csdata,"",@progbits
; Kernel info:
; codeLenInByte = 15156
; NumSgprs: 24
; NumVgprs: 117
; ScratchSize: 0
; MemoryBound: 0
; FloatMode: 240
; IeeeMode: 1
; LDSByteSize: 21296 bytes/workgroup (compile time only)
; SGPRBlocks: 2
; VGPRBlocks: 29
; NumSGPRsForWavesPerEU: 24
; NumVGPRsForWavesPerEU: 117
; Occupancy: 2
; WaveLimiterHint : 1
; COMPUTE_PGM_RSRC2:SCRATCH_EN: 0
; COMPUTE_PGM_RSRC2:USER_SGPR: 6
; COMPUTE_PGM_RSRC2:TRAP_HANDLER: 0
; COMPUTE_PGM_RSRC2:TGID_X_EN: 1
; COMPUTE_PGM_RSRC2:TGID_Y_EN: 0
; COMPUTE_PGM_RSRC2:TGID_Z_EN: 0
; COMPUTE_PGM_RSRC2:TIDIG_COMP_CNT: 0
	.type	__hip_cuid_ae258215b81da916,@object ; @__hip_cuid_ae258215b81da916
	.section	.bss,"aw",@nobits
	.globl	__hip_cuid_ae258215b81da916
__hip_cuid_ae258215b81da916:
	.byte	0                               ; 0x0
	.size	__hip_cuid_ae258215b81da916, 1

	.ident	"AMD clang version 19.0.0git (https://github.com/RadeonOpenCompute/llvm-project roc-6.4.0 25133 c7fe45cf4b819c5991fe208aaa96edf142730f1d)"
	.section	".note.GNU-stack","",@progbits
	.addrsig
	.addrsig_sym __hip_cuid_ae258215b81da916
	.amdgpu_metadata
---
amdhsa.kernels:
  - .args:
      - .actual_access:  read_only
        .address_space:  global
        .offset:         0
        .size:           8
        .value_kind:     global_buffer
      - .actual_access:  read_only
        .address_space:  global
        .offset:         8
        .size:           8
        .value_kind:     global_buffer
      - .actual_access:  read_only
        .address_space:  global
        .offset:         16
        .size:           8
        .value_kind:     global_buffer
      - .actual_access:  read_only
        .address_space:  global
        .offset:         24
        .size:           8
        .value_kind:     global_buffer
      - .actual_access:  read_only
        .address_space:  global
        .offset:         32
        .size:           8
        .value_kind:     global_buffer
      - .offset:         40
        .size:           8
        .value_kind:     by_value
      - .address_space:  global
        .offset:         48
        .size:           8
        .value_kind:     global_buffer
      - .address_space:  global
        .offset:         56
        .size:           8
        .value_kind:     global_buffer
      - .address_space:  global
        .offset:         64
        .size:           8
        .value_kind:     global_buffer
      - .address_space:  global
        .offset:         72
        .size:           8
        .value_kind:     global_buffer
      - .offset:         80
        .size:           4
        .value_kind:     by_value
      - .address_space:  global
        .offset:         88
        .size:           8
        .value_kind:     global_buffer
      - .address_space:  global
        .offset:         96
        .size:           8
        .value_kind:     global_buffer
    .group_segment_fixed_size: 21296
    .kernarg_segment_align: 8
    .kernarg_segment_size: 104
    .language:       OpenCL C
    .language_version:
      - 2
      - 0
    .max_flat_workgroup_size: 242
    .name:           bluestein_single_back_len1331_dim1_sp_op_CI_CI
    .private_segment_fixed_size: 0
    .sgpr_count:     24
    .sgpr_spill_count: 0
    .symbol:         bluestein_single_back_len1331_dim1_sp_op_CI_CI.kd
    .uniform_work_group_size: 1
    .uses_dynamic_stack: false
    .vgpr_count:     117
    .vgpr_spill_count: 0
    .wavefront_size: 64
amdhsa.target:   amdgcn-amd-amdhsa--gfx906
amdhsa.version:
  - 1
  - 2
...

	.end_amdgpu_metadata
